;; amdgpu-corpus repo=ROCm/rocFFT kind=compiled arch=gfx906 opt=O3
	.text
	.amdgcn_target "amdgcn-amd-amdhsa--gfx906"
	.amdhsa_code_object_version 6
	.protected	fft_rtc_back_len1755_factors_13_3_3_3_5_wgs_117_tpt_117_halfLds_dp_op_CI_CI_unitstride_sbrr_dirReg ; -- Begin function fft_rtc_back_len1755_factors_13_3_3_3_5_wgs_117_tpt_117_halfLds_dp_op_CI_CI_unitstride_sbrr_dirReg
	.globl	fft_rtc_back_len1755_factors_13_3_3_3_5_wgs_117_tpt_117_halfLds_dp_op_CI_CI_unitstride_sbrr_dirReg
	.p2align	8
	.type	fft_rtc_back_len1755_factors_13_3_3_3_5_wgs_117_tpt_117_halfLds_dp_op_CI_CI_unitstride_sbrr_dirReg,@function
fft_rtc_back_len1755_factors_13_3_3_3_5_wgs_117_tpt_117_halfLds_dp_op_CI_CI_unitstride_sbrr_dirReg: ; @fft_rtc_back_len1755_factors_13_3_3_3_5_wgs_117_tpt_117_halfLds_dp_op_CI_CI_unitstride_sbrr_dirReg
; %bb.0:
	s_load_dwordx4 s[8:11], s[4:5], 0x58
	s_load_dwordx4 s[12:15], s[4:5], 0x0
	;; [unrolled: 1-line block ×3, first 2 shown]
	v_mul_u32_u24_e32 v1, 0x231, v0
	v_add_u32_sdwa v6, s6, v1 dst_sel:DWORD dst_unused:UNUSED_PAD src0_sel:DWORD src1_sel:WORD_1
	v_mov_b32_e32 v1, 0
	s_waitcnt lgkmcnt(0)
	v_cmp_lt_u64_e64 s[0:1], s[14:15], 2
	v_mov_b32_e32 v4, 0
	v_mov_b32_e32 v7, v1
	s_and_b64 vcc, exec, s[0:1]
	v_mov_b32_e32 v5, 0
	s_cbranch_vccnz .LBB0_8
; %bb.1:
	s_load_dwordx2 s[0:1], s[4:5], 0x10
	s_add_u32 s2, s18, 8
	s_addc_u32 s3, s19, 0
	s_add_u32 s6, s16, 8
	v_mov_b32_e32 v4, 0
	s_addc_u32 s7, s17, 0
	v_mov_b32_e32 v5, 0
	s_waitcnt lgkmcnt(0)
	s_add_u32 s20, s0, 8
	v_mov_b32_e32 v105, v5
	s_addc_u32 s21, s1, 0
	s_mov_b64 s[22:23], 1
	v_mov_b32_e32 v104, v4
.LBB0_2:                                ; =>This Inner Loop Header: Depth=1
	s_load_dwordx2 s[24:25], s[20:21], 0x0
                                        ; implicit-def: $vgpr106_vgpr107
	s_waitcnt lgkmcnt(0)
	v_or_b32_e32 v2, s25, v7
	v_cmp_ne_u64_e32 vcc, 0, v[1:2]
	s_and_saveexec_b64 s[0:1], vcc
	s_xor_b64 s[26:27], exec, s[0:1]
	s_cbranch_execz .LBB0_4
; %bb.3:                                ;   in Loop: Header=BB0_2 Depth=1
	v_cvt_f32_u32_e32 v2, s24
	v_cvt_f32_u32_e32 v3, s25
	s_sub_u32 s0, 0, s24
	s_subb_u32 s1, 0, s25
	v_mac_f32_e32 v2, 0x4f800000, v3
	v_rcp_f32_e32 v2, v2
	v_mul_f32_e32 v2, 0x5f7ffffc, v2
	v_mul_f32_e32 v3, 0x2f800000, v2
	v_trunc_f32_e32 v3, v3
	v_mac_f32_e32 v2, 0xcf800000, v3
	v_cvt_u32_f32_e32 v3, v3
	v_cvt_u32_f32_e32 v2, v2
	v_mul_lo_u32 v8, s0, v3
	v_mul_hi_u32 v9, s0, v2
	v_mul_lo_u32 v11, s1, v2
	v_mul_lo_u32 v10, s0, v2
	v_add_u32_e32 v8, v9, v8
	v_add_u32_e32 v8, v8, v11
	v_mul_hi_u32 v9, v2, v10
	v_mul_lo_u32 v11, v2, v8
	v_mul_hi_u32 v13, v2, v8
	v_mul_hi_u32 v12, v3, v10
	v_mul_lo_u32 v10, v3, v10
	v_mul_hi_u32 v14, v3, v8
	v_add_co_u32_e32 v9, vcc, v9, v11
	v_addc_co_u32_e32 v11, vcc, 0, v13, vcc
	v_mul_lo_u32 v8, v3, v8
	v_add_co_u32_e32 v9, vcc, v9, v10
	v_addc_co_u32_e32 v9, vcc, v11, v12, vcc
	v_addc_co_u32_e32 v10, vcc, 0, v14, vcc
	v_add_co_u32_e32 v8, vcc, v9, v8
	v_addc_co_u32_e32 v9, vcc, 0, v10, vcc
	v_add_co_u32_e32 v2, vcc, v2, v8
	v_addc_co_u32_e32 v3, vcc, v3, v9, vcc
	v_mul_lo_u32 v8, s0, v3
	v_mul_hi_u32 v9, s0, v2
	v_mul_lo_u32 v10, s1, v2
	v_mul_lo_u32 v11, s0, v2
	v_add_u32_e32 v8, v9, v8
	v_add_u32_e32 v8, v8, v10
	v_mul_lo_u32 v12, v2, v8
	v_mul_hi_u32 v13, v2, v11
	v_mul_hi_u32 v14, v2, v8
	v_mul_hi_u32 v10, v3, v11
	v_mul_lo_u32 v11, v3, v11
	v_mul_hi_u32 v9, v3, v8
	v_add_co_u32_e32 v12, vcc, v13, v12
	v_addc_co_u32_e32 v13, vcc, 0, v14, vcc
	v_mul_lo_u32 v8, v3, v8
	v_add_co_u32_e32 v11, vcc, v12, v11
	v_addc_co_u32_e32 v10, vcc, v13, v10, vcc
	v_addc_co_u32_e32 v9, vcc, 0, v9, vcc
	v_add_co_u32_e32 v8, vcc, v10, v8
	v_addc_co_u32_e32 v9, vcc, 0, v9, vcc
	v_add_co_u32_e32 v8, vcc, v2, v8
	v_addc_co_u32_e32 v9, vcc, v3, v9, vcc
	v_mad_u64_u32 v[2:3], s[0:1], v6, v9, 0
	v_mul_hi_u32 v10, v6, v8
	v_add_co_u32_e32 v10, vcc, v10, v2
	v_addc_co_u32_e32 v11, vcc, 0, v3, vcc
	v_mad_u64_u32 v[2:3], s[0:1], v7, v8, 0
	v_mad_u64_u32 v[8:9], s[0:1], v7, v9, 0
	v_add_co_u32_e32 v2, vcc, v10, v2
	v_addc_co_u32_e32 v2, vcc, v11, v3, vcc
	v_addc_co_u32_e32 v3, vcc, 0, v9, vcc
	v_add_co_u32_e32 v8, vcc, v2, v8
	v_addc_co_u32_e32 v9, vcc, 0, v3, vcc
	v_mul_lo_u32 v10, s25, v8
	v_mul_lo_u32 v11, s24, v9
	v_mad_u64_u32 v[2:3], s[0:1], s24, v8, 0
	v_add3_u32 v3, v3, v11, v10
	v_sub_u32_e32 v10, v7, v3
	v_mov_b32_e32 v11, s25
	v_sub_co_u32_e32 v2, vcc, v6, v2
	v_subb_co_u32_e64 v10, s[0:1], v10, v11, vcc
	v_subrev_co_u32_e64 v11, s[0:1], s24, v2
	v_subbrev_co_u32_e64 v10, s[0:1], 0, v10, s[0:1]
	v_cmp_le_u32_e64 s[0:1], s25, v10
	v_cndmask_b32_e64 v12, 0, -1, s[0:1]
	v_cmp_le_u32_e64 s[0:1], s24, v11
	v_cndmask_b32_e64 v11, 0, -1, s[0:1]
	v_cmp_eq_u32_e64 s[0:1], s25, v10
	v_cndmask_b32_e64 v10, v12, v11, s[0:1]
	v_add_co_u32_e64 v11, s[0:1], 2, v8
	v_addc_co_u32_e64 v12, s[0:1], 0, v9, s[0:1]
	v_add_co_u32_e64 v13, s[0:1], 1, v8
	v_addc_co_u32_e64 v14, s[0:1], 0, v9, s[0:1]
	v_subb_co_u32_e32 v3, vcc, v7, v3, vcc
	v_cmp_ne_u32_e64 s[0:1], 0, v10
	v_cmp_le_u32_e32 vcc, s25, v3
	v_cndmask_b32_e64 v10, v14, v12, s[0:1]
	v_cndmask_b32_e64 v12, 0, -1, vcc
	v_cmp_le_u32_e32 vcc, s24, v2
	v_cndmask_b32_e64 v2, 0, -1, vcc
	v_cmp_eq_u32_e32 vcc, s25, v3
	v_cndmask_b32_e32 v2, v12, v2, vcc
	v_cmp_ne_u32_e32 vcc, 0, v2
	v_cndmask_b32_e64 v2, v13, v11, s[0:1]
	v_cndmask_b32_e32 v107, v9, v10, vcc
	v_cndmask_b32_e32 v106, v8, v2, vcc
.LBB0_4:                                ;   in Loop: Header=BB0_2 Depth=1
	s_andn2_saveexec_b64 s[0:1], s[26:27]
	s_cbranch_execz .LBB0_6
; %bb.5:                                ;   in Loop: Header=BB0_2 Depth=1
	v_cvt_f32_u32_e32 v2, s24
	s_sub_i32 s26, 0, s24
	v_mov_b32_e32 v107, v1
	v_rcp_iflag_f32_e32 v2, v2
	v_mul_f32_e32 v2, 0x4f7ffffe, v2
	v_cvt_u32_f32_e32 v2, v2
	v_mul_lo_u32 v3, s26, v2
	v_mul_hi_u32 v3, v2, v3
	v_add_u32_e32 v2, v2, v3
	v_mul_hi_u32 v2, v6, v2
	v_mul_lo_u32 v3, v2, s24
	v_add_u32_e32 v8, 1, v2
	v_sub_u32_e32 v3, v6, v3
	v_subrev_u32_e32 v9, s24, v3
	v_cmp_le_u32_e32 vcc, s24, v3
	v_cndmask_b32_e32 v3, v3, v9, vcc
	v_cndmask_b32_e32 v2, v2, v8, vcc
	v_add_u32_e32 v8, 1, v2
	v_cmp_le_u32_e32 vcc, s24, v3
	v_cndmask_b32_e32 v106, v2, v8, vcc
.LBB0_6:                                ;   in Loop: Header=BB0_2 Depth=1
	s_or_b64 exec, exec, s[0:1]
	v_mul_lo_u32 v8, v107, s24
	v_mul_lo_u32 v9, v106, s25
	v_mad_u64_u32 v[2:3], s[0:1], v106, s24, 0
	s_load_dwordx2 s[0:1], s[6:7], 0x0
	s_load_dwordx2 s[24:25], s[2:3], 0x0
	v_add3_u32 v3, v3, v9, v8
	v_sub_co_u32_e32 v2, vcc, v6, v2
	v_subb_co_u32_e32 v3, vcc, v7, v3, vcc
	s_waitcnt lgkmcnt(0)
	v_mul_lo_u32 v6, s0, v3
	v_mul_lo_u32 v7, s1, v2
	v_mad_u64_u32 v[4:5], s[0:1], s0, v2, v[4:5]
	v_mul_lo_u32 v3, s24, v3
	v_mul_lo_u32 v8, s25, v2
	v_mad_u64_u32 v[104:105], s[0:1], s24, v2, v[104:105]
	s_add_u32 s22, s22, 1
	s_addc_u32 s23, s23, 0
	s_add_u32 s2, s2, 8
	v_add3_u32 v105, v8, v105, v3
	s_addc_u32 s3, s3, 0
	v_mov_b32_e32 v2, s14
	s_add_u32 s6, s6, 8
	v_mov_b32_e32 v3, s15
	s_addc_u32 s7, s7, 0
	v_cmp_ge_u64_e32 vcc, s[22:23], v[2:3]
	s_add_u32 s20, s20, 8
	v_add3_u32 v5, v7, v5, v6
	s_addc_u32 s21, s21, 0
	s_cbranch_vccnz .LBB0_9
; %bb.7:                                ;   in Loop: Header=BB0_2 Depth=1
	v_mov_b32_e32 v6, v106
	v_mov_b32_e32 v7, v107
	s_branch .LBB0_2
.LBB0_8:
	v_mov_b32_e32 v105, v5
	v_mov_b32_e32 v107, v7
	;; [unrolled: 1-line block ×4, first 2 shown]
.LBB0_9:
	s_load_dwordx2 s[4:5], s[4:5], 0x28
	s_lshl_b64 s[6:7], s[14:15], 3
	s_add_u32 s2, s18, s6
	s_addc_u32 s3, s19, s7
                                        ; implicit-def: $vgpr114
	s_waitcnt lgkmcnt(0)
	v_cmp_gt_u64_e64 s[0:1], s[4:5], v[106:107]
	v_cmp_le_u64_e32 vcc, s[4:5], v[106:107]
	s_and_saveexec_b64 s[4:5], vcc
	s_xor_b64 s[4:5], exec, s[4:5]
; %bb.10:
	s_mov_b32 s14, 0x2302303
	v_mul_hi_u32 v1, v0, s14
                                        ; implicit-def: $vgpr4_vgpr5
	v_mul_u32_u24_e32 v1, 0x75, v1
	v_sub_u32_e32 v114, v0, v1
                                        ; implicit-def: $vgpr0
; %bb.11:
	s_or_saveexec_b64 s[4:5], s[4:5]
	s_load_dwordx2 s[2:3], s[2:3], 0x0
                                        ; implicit-def: $vgpr46_vgpr47
                                        ; implicit-def: $vgpr42_vgpr43
                                        ; implicit-def: $vgpr38_vgpr39
                                        ; implicit-def: $vgpr30_vgpr31
                                        ; implicit-def: $vgpr14_vgpr15
                                        ; implicit-def: $vgpr6_vgpr7
                                        ; implicit-def: $vgpr2_vgpr3
                                        ; implicit-def: $vgpr10_vgpr11
                                        ; implicit-def: $vgpr18_vgpr19
                                        ; implicit-def: $vgpr26_vgpr27
                                        ; implicit-def: $vgpr34_vgpr35
                                        ; implicit-def: $vgpr50_vgpr51
                                        ; implicit-def: $vgpr22_vgpr23
                                        ; implicit-def: $vgpr82_vgpr83
                                        ; implicit-def: $vgpr86_vgpr87
                                        ; implicit-def: $vgpr94_vgpr95
                                        ; implicit-def: $vgpr78_vgpr79
                                        ; implicit-def: $vgpr66_vgpr67
                                        ; implicit-def: $vgpr58_vgpr59
                                        ; implicit-def: $vgpr54_vgpr55
                                        ; implicit-def: $vgpr62_vgpr63
                                        ; implicit-def: $vgpr70_vgpr71
                                        ; implicit-def: $vgpr90_vgpr91
                                        ; implicit-def: $vgpr98_vgpr99
                                        ; implicit-def: $vgpr102_vgpr103
                                        ; implicit-def: $vgpr74_vgpr75
	s_xor_b64 exec, exec, s[4:5]
	s_cbranch_execz .LBB0_15
; %bb.12:
	s_add_u32 s6, s16, s6
	s_addc_u32 s7, s17, s7
	s_load_dwordx2 s[6:7], s[6:7], 0x0
	s_mov_b32 s14, 0x2302303
	v_mul_hi_u32 v3, v0, s14
                                        ; implicit-def: $vgpr20_vgpr21
                                        ; implicit-def: $vgpr48_vgpr49
                                        ; implicit-def: $vgpr32_vgpr33
                                        ; implicit-def: $vgpr24_vgpr25
                                        ; implicit-def: $vgpr16_vgpr17
                                        ; implicit-def: $vgpr8_vgpr9
                                        ; implicit-def: $vgpr12_vgpr13
                                        ; implicit-def: $vgpr28_vgpr29
                                        ; implicit-def: $vgpr36_vgpr37
                                        ; implicit-def: $vgpr40_vgpr41
                                        ; implicit-def: $vgpr44_vgpr45
	s_waitcnt lgkmcnt(0)
	v_mul_lo_u32 v6, s7, v106
	v_mul_lo_u32 v7, s6, v107
	v_mad_u64_u32 v[1:2], s[6:7], s6, v106, 0
	v_mul_u32_u24_e32 v3, 0x75, v3
	v_sub_u32_e32 v114, v0, v3
	v_add3_u32 v2, v2, v7, v6
	v_lshlrev_b64 v[0:1], 4, v[1:2]
	v_mov_b32_e32 v2, s9
	v_add_co_u32_e32 v3, vcc, s8, v0
	v_addc_co_u32_e32 v2, vcc, v2, v1, vcc
	v_lshlrev_b64 v[0:1], 4, v[4:5]
	s_movk_i32 s6, 0x1000
	v_add_co_u32_e32 v0, vcc, v3, v0
	v_addc_co_u32_e32 v1, vcc, v2, v1, vcc
	v_lshlrev_b32_e32 v2, 4, v114
	v_add_co_u32_e32 v38, vcc, v0, v2
	v_addc_co_u32_e32 v39, vcc, 0, v1, vcc
	v_add_co_u32_e32 v42, vcc, s6, v38
	v_addc_co_u32_e32 v43, vcc, 0, v39, vcc
	s_movk_i32 s6, 0x2000
	v_add_co_u32_e32 v46, vcc, s6, v38
	v_addc_co_u32_e32 v47, vcc, 0, v39, vcc
	s_movk_i32 s6, 0x3000
	;; [unrolled: 3-line block ×4, first 2 shown]
	v_add_co_u32_e32 v108, vcc, s6, v38
	v_addc_co_u32_e32 v109, vcc, 0, v39, vcc
	v_add_co_u32_e32 v0, vcc, 0x6000, v38
	v_addc_co_u32_e32 v1, vcc, 0, v39, vcc
	global_load_dwordx4 v[72:75], v[38:39], off
	global_load_dwordx4 v[100:103], v[38:39], off offset:2160
	global_load_dwordx4 v[96:99], v[42:43], off offset:224
	;; [unrolled: 1-line block ×12, first 2 shown]
	s_movk_i32 s8, 0x6000
	v_cmp_gt_u32_e32 vcc, 18, v114
                                        ; implicit-def: $vgpr0_vgpr1
                                        ; implicit-def: $vgpr4_vgpr5
	s_and_saveexec_b64 s[6:7], vcc
	s_cbranch_execz .LBB0_14
; %bb.13:
	global_load_dwordx4 v[20:23], v[38:39], off offset:1872
	global_load_dwordx4 v[48:51], v[38:39], off offset:4032
	;; [unrolled: 1-line block ×10, first 2 shown]
	v_add_co_u32_e32 v110, vcc, s8, v38
	v_addc_co_u32_e32 v111, vcc, 0, v39, vcc
	global_load_dwordx4 v[36:39], v[108:109], off offset:2992
	global_load_dwordx4 v[40:43], v[110:111], off offset:1056
	;; [unrolled: 1-line block ×3, first 2 shown]
.LBB0_14:
	s_or_b64 exec, exec, s[6:7]
.LBB0_15:
	s_or_b64 exec, exec, s[4:5]
	s_waitcnt vmcnt(11)
	v_add_f64 v[108:109], v[100:101], v[72:73]
	s_waitcnt vmcnt(2)
	v_add_f64 v[112:113], v[102:103], -v[82:83]
	s_mov_b32 s38, 0x4267c47c
	s_mov_b32 s22, 0x42a4c3d2
	;; [unrolled: 1-line block ×4, first 2 shown]
	v_add_f64 v[110:111], v[80:81], v[100:101]
	s_waitcnt vmcnt(0)
	v_add_f64 v[117:118], v[98:99], -v[86:87]
	v_add_f64 v[108:109], v[96:97], v[108:109]
	v_mul_f64 v[119:120], v[112:113], s[38:39]
	v_mul_f64 v[121:122], v[112:113], s[22:23]
	s_mov_b32 s8, 0xe00740e9
	s_mov_b32 s4, 0x1ea71119
	;; [unrolled: 1-line block ×5, first 2 shown]
	v_add_f64 v[108:109], v[88:89], v[108:109]
	s_mov_b32 s28, 0x4bc48dbf
	s_mov_b32 s9, 0x3fec55a7
	;; [unrolled: 1-line block ×7, first 2 shown]
	v_add_f64 v[108:109], v[68:69], v[108:109]
	v_add_f64 v[115:116], v[84:85], v[96:97]
	v_mul_f64 v[123:124], v[112:113], s[30:31]
	v_mul_f64 v[125:126], v[112:113], s[16:17]
	;; [unrolled: 1-line block ×6, first 2 shown]
	v_add_f64 v[108:109], v[60:61], v[108:109]
	v_fma_f64 v[139:140], v[110:111], s[8:9], v[119:120]
	v_fma_f64 v[119:120], v[110:111], s[8:9], -v[119:120]
	v_fma_f64 v[141:142], v[110:111], s[4:5], v[121:122]
	v_fma_f64 v[121:122], v[110:111], s[4:5], -v[121:122]
	s_mov_b32 s6, 0xebaa3ed8
	s_mov_b32 s14, 0xb2365da1
	;; [unrolled: 1-line block ×3, first 2 shown]
	v_add_f64 v[108:109], v[52:53], v[108:109]
	s_mov_b32 s26, 0x93053d00
	s_mov_b32 s7, 0x3fbedb7d
	;; [unrolled: 1-line block ×7, first 2 shown]
	v_add_f64 v[108:109], v[56:57], v[108:109]
	s_mov_b32 s36, s20
	s_mov_b32 s24, s30
	v_mul_f64 v[133:134], v[117:118], s[28:29]
	v_mul_f64 v[135:136], v[117:118], s[36:37]
	;; [unrolled: 1-line block ×3, first 2 shown]
	v_fma_f64 v[143:144], v[110:111], s[6:7], v[123:124]
	v_fma_f64 v[123:124], v[110:111], s[6:7], -v[123:124]
	v_add_f64 v[108:109], v[64:65], v[108:109]
	v_fma_f64 v[145:146], v[110:111], s[14:15], v[125:126]
	v_fma_f64 v[125:126], v[110:111], s[14:15], -v[125:126]
	v_fma_f64 v[147:148], v[110:111], s[18:19], v[127:128]
	v_fma_f64 v[127:128], v[110:111], s[18:19], -v[127:128]
	;; [unrolled: 2-line block ×3, first 2 shown]
	v_fma_f64 v[112:113], v[115:116], s[4:5], v[129:130]
	v_add_f64 v[108:109], v[76:77], v[108:109]
	v_fma_f64 v[129:130], v[115:116], s[4:5], -v[129:130]
	v_fma_f64 v[151:152], v[115:116], s[14:15], v[131:132]
	v_fma_f64 v[131:132], v[115:116], s[14:15], -v[131:132]
	v_add_f64 v[139:140], v[72:73], v[139:140]
	v_add_f64 v[119:120], v[72:73], v[119:120]
	v_add_f64 v[141:142], v[72:73], v[141:142]
	v_add_f64 v[121:122], v[72:73], v[121:122]
	v_add_f64 v[108:109], v[92:93], v[108:109]
	s_mov_b32 s35, 0x3fddbe06
	s_mov_b32 s34, s38
	v_fma_f64 v[153:154], v[115:116], s[26:27], v[133:134]
	v_add_f64 v[143:144], v[72:73], v[143:144]
	v_add_f64 v[123:124], v[72:73], v[123:124]
	;; [unrolled: 1-line block ×14, first 2 shown]
	v_fma_f64 v[108:109], v[115:116], s[26:27], -v[133:134]
	v_fma_f64 v[133:134], v[115:116], s[18:19], v[135:136]
	v_fma_f64 v[135:136], v[115:116], s[18:19], -v[135:136]
	v_fma_f64 v[139:140], v[115:116], s[6:7], v[137:138]
	v_fma_f64 v[137:138], v[115:116], s[6:7], -v[137:138]
	v_add_f64 v[141:142], v[90:91], -v[94:95]
	v_mul_f64 v[117:118], v[117:118], s[34:35]
	s_mov_b32 s45, 0x3fedeba7
	s_mov_b32 s44, s16
	v_add_f64 v[129:130], v[153:154], v[143:144]
	v_add_f64 v[108:109], v[108:109], v[123:124]
	;; [unrolled: 1-line block ×6, first 2 shown]
	v_mul_f64 v[139:140], v[141:142], s[30:31]
	v_add_f64 v[127:128], v[137:138], v[127:128]
	v_fma_f64 v[137:138], v[115:116], s[8:9], v[117:118]
	v_fma_f64 v[115:116], v[115:116], s[8:9], -v[117:118]
	v_mul_f64 v[117:118], v[141:142], s[28:29]
	v_mul_f64 v[143:144], v[141:142], s[44:45]
	s_mov_b32 s43, 0x3fcea1e5
	s_mov_b32 s42, s28
	v_fma_f64 v[145:146], v[135:136], s[6:7], v[139:140]
	v_fma_f64 v[139:140], v[135:136], s[6:7], -v[139:140]
	v_add_f64 v[137:138], v[137:138], v[149:150]
	v_add_f64 v[72:73], v[115:116], v[72:73]
	v_mul_f64 v[115:116], v[141:142], s[34:35]
	v_fma_f64 v[147:148], v[135:136], s[26:27], v[117:118]
	v_fma_f64 v[117:118], v[135:136], s[26:27], -v[117:118]
	v_fma_f64 v[149:150], v[135:136], s[14:15], v[143:144]
	v_add_f64 v[110:111], v[145:146], v[110:111]
	v_add_f64 v[112:113], v[139:140], v[112:113]
	v_fma_f64 v[139:140], v[135:136], s[14:15], -v[143:144]
	v_mul_f64 v[143:144], v[141:142], s[22:23]
	v_fma_f64 v[145:146], v[135:136], s[8:9], v[115:116]
	v_fma_f64 v[115:116], v[135:136], s[8:9], -v[115:116]
	v_add_f64 v[117:118], v[117:118], v[121:122]
	v_add_f64 v[121:122], v[149:150], v[129:130]
	v_add_f64 v[129:130], v[70:71], -v[78:79]
	v_mul_f64 v[141:142], v[141:142], s[20:21]
	v_add_f64 v[119:120], v[147:148], v[119:120]
	v_add_f64 v[108:109], v[139:140], v[108:109]
	v_fma_f64 v[139:140], v[135:136], s[4:5], v[143:144]
	v_add_f64 v[123:124], v[145:146], v[123:124]
	v_fma_f64 v[143:144], v[135:136], s[4:5], -v[143:144]
	v_add_f64 v[145:146], v[76:77], v[68:69]
	v_mul_f64 v[147:148], v[129:130], s[16:17]
	v_add_f64 v[115:116], v[115:116], v[125:126]
	v_mul_f64 v[125:126], v[129:130], s[36:37]
	v_fma_f64 v[149:150], v[135:136], s[18:19], v[141:142]
	v_add_f64 v[133:134], v[139:140], v[133:134]
	v_mul_f64 v[139:140], v[129:130], s[34:35]
	v_add_f64 v[127:128], v[143:144], v[127:128]
	v_fma_f64 v[135:136], v[135:136], s[18:19], -v[141:142]
	v_fma_f64 v[141:142], v[145:146], s[14:15], v[147:148]
	v_fma_f64 v[143:144], v[145:146], s[14:15], -v[147:148]
	v_fma_f64 v[147:148], v[145:146], s[18:19], v[125:126]
	v_fma_f64 v[125:126], v[145:146], s[18:19], -v[125:126]
	v_add_f64 v[137:138], v[149:150], v[137:138]
	v_mul_f64 v[149:150], v[129:130], s[30:31]
	v_fma_f64 v[151:152], v[145:146], s[8:9], v[139:140]
	v_add_f64 v[72:73], v[135:136], v[72:73]
	s_mov_b32 s41, 0x3fea55e2
	v_add_f64 v[112:113], v[143:144], v[112:113]
	v_add_f64 v[143:144], v[62:63], -v[66:67]
	v_add_f64 v[117:118], v[125:126], v[117:118]
	v_fma_f64 v[125:126], v[145:146], s[8:9], -v[139:140]
	v_fma_f64 v[135:136], v[145:146], s[6:7], v[149:150]
	v_mul_f64 v[139:140], v[129:130], s[42:43]
	s_mov_b32 s40, s22
	v_add_f64 v[110:111], v[141:142], v[110:111]
	v_fma_f64 v[141:142], v[145:146], s[6:7], -v[149:150]
	v_mul_f64 v[129:130], v[129:130], s[40:41]
	v_add_f64 v[119:120], v[147:148], v[119:120]
	v_add_f64 v[108:109], v[125:126], v[108:109]
	;; [unrolled: 1-line block ×3, first 2 shown]
	v_fma_f64 v[125:126], v[145:146], s[26:27], v[139:140]
	v_add_f64 v[135:136], v[64:65], v[60:61]
	v_mul_f64 v[147:148], v[143:144], s[20:21]
	v_add_f64 v[115:116], v[141:142], v[115:116]
	v_fma_f64 v[139:140], v[145:146], s[26:27], -v[139:140]
	v_fma_f64 v[141:142], v[145:146], s[4:5], v[129:130]
	v_mul_f64 v[149:150], v[143:144], s[24:25]
	v_fma_f64 v[129:130], v[145:146], s[4:5], -v[129:130]
	v_add_f64 v[125:126], v[125:126], v[133:134]
	v_mul_f64 v[133:134], v[143:144], s[22:23]
	v_fma_f64 v[145:146], v[135:136], s[18:19], v[147:148]
	v_add_f64 v[121:122], v[151:152], v[121:122]
	v_add_f64 v[127:128], v[139:140], v[127:128]
	;; [unrolled: 1-line block ×3, first 2 shown]
	v_fma_f64 v[139:140], v[135:136], s[6:7], v[149:150]
	v_add_f64 v[72:73], v[129:130], v[72:73]
	v_fma_f64 v[129:130], v[135:136], s[6:7], -v[149:150]
	v_fma_f64 v[141:142], v[135:136], s[4:5], v[133:134]
	v_add_f64 v[110:111], v[145:146], v[110:111]
	v_fma_f64 v[133:134], v[135:136], s[4:5], -v[133:134]
	v_mul_f64 v[145:146], v[143:144], s[42:43]
	v_fma_f64 v[147:148], v[135:136], s[18:19], -v[147:148]
	v_add_f64 v[119:120], v[139:140], v[119:120]
	v_mul_f64 v[139:140], v[143:144], s[34:35]
	v_add_f64 v[117:118], v[129:130], v[117:118]
	v_add_f64 v[129:130], v[54:55], -v[58:59]
	v_add_f64 v[121:122], v[141:142], v[121:122]
	v_add_f64 v[108:109], v[133:134], v[108:109]
	v_fma_f64 v[133:134], v[135:136], s[26:27], v[145:146]
	v_add_f64 v[112:113], v[147:148], v[112:113]
	v_mul_f64 v[141:142], v[143:144], s[16:17]
	v_fma_f64 v[143:144], v[135:136], s[26:27], -v[145:146]
	v_fma_f64 v[145:146], v[135:136], s[8:9], v[139:140]
	v_fma_f64 v[139:140], v[135:136], s[8:9], -v[139:140]
	v_add_f64 v[147:148], v[56:57], v[52:53]
	v_mul_f64 v[149:150], v[129:130], s[28:29]
	v_add_f64 v[123:124], v[133:134], v[123:124]
	v_mul_f64 v[133:134], v[129:130], s[34:35]
	v_fma_f64 v[151:152], v[135:136], s[14:15], v[141:142]
	v_fma_f64 v[135:136], v[135:136], s[14:15], -v[141:142]
	v_add_f64 v[115:116], v[143:144], v[115:116]
	v_add_f64 v[127:128], v[139:140], v[127:128]
	v_mul_f64 v[143:144], v[129:130], s[20:21]
	v_fma_f64 v[139:140], v[147:148], s[26:27], v[149:150]
	v_add_f64 v[125:126], v[145:146], v[125:126]
	v_fma_f64 v[141:142], v[147:148], s[8:9], v[133:134]
	v_fma_f64 v[133:134], v[147:148], s[8:9], -v[133:134]
	v_add_f64 v[72:73], v[135:136], v[72:73]
	v_fma_f64 v[135:136], v[147:148], s[26:27], -v[149:150]
	v_mul_f64 v[145:146], v[129:130], s[40:41]
	v_add_f64 v[137:138], v[151:152], v[137:138]
	v_add_f64 v[110:111], v[139:140], v[110:111]
	v_mul_f64 v[139:140], v[129:130], s[16:17]
	v_mul_f64 v[129:130], v[129:130], s[24:25]
	v_add_f64 v[117:118], v[133:134], v[117:118]
	v_fma_f64 v[133:134], v[147:148], s[18:19], v[143:144]
	v_add_f64 v[112:113], v[135:136], v[112:113]
	v_add_f64 v[119:120], v[141:142], v[119:120]
	v_fma_f64 v[135:136], v[147:148], s[4:5], v[145:146]
	v_fma_f64 v[141:142], v[147:148], s[4:5], -v[145:146]
	v_fma_f64 v[145:146], v[147:148], s[14:15], v[139:140]
	v_fma_f64 v[149:150], v[147:148], s[6:7], v[129:130]
	v_fma_f64 v[129:130], v[147:148], s[6:7], -v[129:130]
	v_fma_f64 v[139:140], v[147:148], s[14:15], -v[139:140]
	;; [unrolled: 1-line block ×3, first 2 shown]
	v_add_f64 v[121:122], v[133:134], v[121:122]
	v_add_f64 v[123:124], v[135:136], v[123:124]
	;; [unrolled: 1-line block ×8, first 2 shown]
	s_movk_i32 s33, 0x68
	v_mad_u32_u24 v108, v114, s33, 0
	v_cmp_gt_u32_e32 vcc, 18, v114
	ds_write2_b64 v108, v[131:132], v[110:111] offset1:1
	ds_write2_b64 v108, v[119:120], v[121:122] offset0:2 offset1:3
	ds_write2_b64 v108, v[123:124], v[125:126] offset0:4 offset1:5
	;; [unrolled: 1-line block ×5, first 2 shown]
	ds_write_b64 v108, v[112:113] offset:96
	s_and_saveexec_b64 s[46:47], vcc
	s_cbranch_execz .LBB0_17
; %bb.16:
	v_add_f64 v[72:73], v[44:45], v[48:49]
	v_add_f64 v[121:122], v[40:41], v[32:33]
	v_add_f64 v[123:124], v[50:51], -v[46:47]
	v_add_f64 v[129:130], v[36:37], v[24:25]
	v_add_f64 v[133:134], v[34:35], -v[42:43]
	;; [unrolled: 2-line block ×3, first 2 shown]
	v_add_f64 v[127:128], v[18:19], -v[30:31]
	v_mul_f64 v[125:126], v[72:73], s[26:27]
	v_mul_f64 v[139:140], v[121:122], s[8:9]
	;; [unrolled: 1-line block ×4, first 2 shown]
	v_add_f64 v[115:116], v[12:13], v[8:9]
	v_mul_f64 v[143:144], v[119:120], s[4:5]
	v_mul_f64 v[153:154], v[121:122], s[6:7]
	;; [unrolled: 1-line block ×3, first 2 shown]
	v_fma_f64 v[141:142], v[123:124], s[42:43], v[125:126]
	v_fma_f64 v[155:156], v[133:134], s[38:39], v[139:140]
	v_fma_f64 v[125:126], v[123:124], s[28:29], v[125:126]
	v_fma_f64 v[167:168], v[131:132], s[36:37], v[145:146]
	v_fma_f64 v[139:140], v[133:134], s[34:35], v[139:140]
	v_fma_f64 v[171:172], v[127:128], s[22:23], v[143:144]
	v_add_f64 v[109:110], v[4:5], v[0:1]
	v_add_f64 v[117:118], v[10:11], -v[14:15]
	v_add_f64 v[141:142], v[20:21], v[141:142]
	v_mul_f64 v[137:138], v[115:116], s[14:15]
	v_add_f64 v[125:126], v[20:21], v[125:126]
	v_mul_f64 v[151:152], v[129:130], s[4:5]
	v_mul_f64 v[163:164], v[121:122], s[18:19]
	v_fma_f64 v[145:146], v[131:132], s[20:21], v[145:146]
	v_fma_f64 v[173:174], v[133:134], s[30:31], v[153:154]
	;; [unrolled: 1-line block ×3, first 2 shown]
	v_add_f64 v[141:142], v[155:156], v[141:142]
	v_fma_f64 v[153:154], v[133:134], s[24:25], v[153:154]
	v_add_f64 v[125:126], v[139:140], v[125:126]
	v_add_f64 v[111:112], v[2:3], -v[6:7]
	v_mul_f64 v[135:136], v[109:110], s[6:7]
	v_mul_f64 v[149:150], v[119:120], s[26:27]
	;; [unrolled: 1-line block ×3, first 2 shown]
	v_fma_f64 v[169:170], v[117:118], s[44:45], v[137:138]
	v_add_f64 v[141:142], v[167:168], v[141:142]
	v_fma_f64 v[167:168], v[123:124], s[36:37], v[157:158]
	v_fma_f64 v[157:158], v[123:124], s[20:21], v[157:158]
	;; [unrolled: 1-line block ×3, first 2 shown]
	v_add_f64 v[175:176], v[20:21], v[175:176]
	v_add_f64 v[125:126], v[145:146], v[125:126]
	v_fma_f64 v[145:146], v[131:132], s[22:23], v[151:152]
	v_mul_f64 v[147:148], v[115:116], s[8:9]
	v_add_f64 v[139:140], v[171:172], v[141:142]
	v_add_f64 v[141:142], v[20:21], v[167:168]
	v_add_f64 v[157:158], v[20:21], v[157:158]
	v_fma_f64 v[167:168], v[131:132], s[40:41], v[151:152]
	v_fma_f64 v[171:172], v[133:134], s[20:21], v[163:164]
	v_mul_f64 v[159:160], v[119:120], s[6:7]
	v_fma_f64 v[155:156], v[111:112], s[30:31], v[135:136]
	v_add_f64 v[125:126], v[143:144], v[125:126]
	v_add_f64 v[139:140], v[169:170], v[139:140]
	;; [unrolled: 1-line block ×4, first 2 shown]
	v_fma_f64 v[153:154], v[127:128], s[28:29], v[149:150]
	v_fma_f64 v[157:158], v[131:132], s[38:39], v[161:162]
	v_add_f64 v[169:170], v[171:172], v[175:176]
	v_fma_f64 v[143:144], v[127:128], s[42:43], v[149:150]
	v_fma_f64 v[137:138], v[117:118], s[16:17], v[137:138]
	v_add_f64 v[139:140], v[155:156], v[139:140]
	v_add_f64 v[141:142], v[167:168], v[141:142]
	;; [unrolled: 1-line block ×3, first 2 shown]
	v_mul_f64 v[149:150], v[109:110], s[14:15]
	v_mul_f64 v[151:152], v[115:116], s[26:27]
	v_fma_f64 v[155:156], v[127:128], s[24:25], v[159:160]
	v_add_f64 v[157:158], v[157:158], v[169:170]
	v_fma_f64 v[167:168], v[117:118], s[38:39], v[147:148]
	v_fma_f64 v[147:148], v[117:118], s[34:35], v[147:148]
	v_add_f64 v[141:142], v[153:154], v[141:142]
	v_add_f64 v[143:144], v[143:144], v[145:146]
	v_fma_f64 v[135:136], v[111:112], s[24:25], v[135:136]
	v_add_f64 v[125:126], v[137:138], v[125:126]
	v_mul_f64 v[137:138], v[109:110], s[4:5]
	v_fma_f64 v[145:146], v[117:118], s[28:29], v[151:152]
	v_add_f64 v[153:154], v[155:156], v[157:158]
	v_fma_f64 v[155:156], v[111:112], s[44:45], v[149:150]
	v_add_f64 v[141:142], v[167:168], v[141:142]
	;; [unrolled: 2-line block ×3, first 2 shown]
	v_mul_f64 v[147:148], v[72:73], s[6:7]
	v_fma_f64 v[157:158], v[111:112], s[22:23], v[137:138]
	v_fma_f64 v[165:166], v[123:124], s[16:17], v[165:166]
	v_add_f64 v[145:146], v[145:146], v[153:154]
	v_add_f64 v[125:126], v[135:136], v[125:126]
	;; [unrolled: 1-line block ×3, first 2 shown]
	v_mul_f64 v[141:142], v[121:122], s[26:27]
	v_add_f64 v[143:144], v[149:150], v[143:144]
	v_fma_f64 v[149:150], v[123:124], s[24:25], v[147:148]
	v_fma_f64 v[153:154], v[133:134], s[36:37], v[163:164]
	v_add_f64 v[155:156], v[20:21], v[165:166]
	v_add_f64 v[145:146], v[157:158], v[145:146]
	v_mul_f64 v[157:158], v[129:130], s[14:15]
	v_fma_f64 v[147:148], v[123:124], s[30:31], v[147:148]
	v_fma_f64 v[163:164], v[133:134], s[42:43], v[141:142]
	;; [unrolled: 1-line block ×3, first 2 shown]
	v_add_f64 v[149:150], v[20:21], v[149:150]
	v_fma_f64 v[141:142], v[133:134], s[28:29], v[141:142]
	v_add_f64 v[153:154], v[153:154], v[155:156]
	v_fma_f64 v[155:156], v[127:128], s[30:31], v[159:160]
	v_fma_f64 v[165:166], v[131:132], s[16:17], v[157:158]
	v_add_f64 v[147:148], v[20:21], v[147:148]
	v_mul_f64 v[159:160], v[119:120], s[8:9]
	v_fma_f64 v[151:152], v[117:118], s[42:43], v[151:152]
	v_add_f64 v[149:150], v[163:164], v[149:150]
	v_add_f64 v[163:164], v[48:49], v[20:21]
	;; [unrolled: 1-line block ×3, first 2 shown]
	v_mul_f64 v[161:162], v[115:116], s[4:5]
	v_fma_f64 v[157:158], v[131:132], s[44:45], v[157:158]
	v_add_f64 v[141:142], v[141:142], v[147:148]
	v_fma_f64 v[167:168], v[127:128], s[38:39], v[159:160]
	v_fma_f64 v[159:160], v[127:128], s[34:35], v[159:160]
	v_add_f64 v[147:148], v[165:166], v[149:150]
	v_add_f64 v[149:150], v[32:33], v[163:164]
	;; [unrolled: 1-line block ×3, first 2 shown]
	v_mul_f64 v[163:164], v[72:73], s[4:5]
	v_fma_f64 v[165:166], v[117:118], s[40:41], v[161:162]
	v_add_f64 v[141:142], v[157:158], v[141:142]
	v_mul_f64 v[72:73], v[72:73], s[8:9]
	v_fma_f64 v[161:162], v[117:118], s[22:23], v[161:162]
	v_add_f64 v[147:148], v[167:168], v[147:148]
	v_add_f64 v[149:150], v[24:25], v[149:150]
	;; [unrolled: 1-line block ×3, first 2 shown]
	v_mul_f64 v[153:154], v[121:122], s[14:15]
	v_fma_f64 v[157:158], v[123:124], s[40:41], v[163:164]
	v_add_f64 v[141:142], v[159:160], v[141:142]
	v_mul_f64 v[159:160], v[129:130], s[26:27]
	v_mul_f64 v[121:122], v[121:122], s[4:5]
	v_add_f64 v[147:148], v[165:166], v[147:148]
	v_add_f64 v[149:150], v[16:17], v[149:150]
	v_fma_f64 v[175:176], v[123:124], s[38:39], v[72:73]
	v_fma_f64 v[165:166], v[133:134], s[44:45], v[153:154]
	v_add_f64 v[157:158], v[20:21], v[157:158]
	v_fma_f64 v[163:164], v[123:124], s[22:23], v[163:164]
	v_fma_f64 v[171:172], v[131:132], s[42:43], v[159:160]
	;; [unrolled: 1-line block ×3, first 2 shown]
	v_mul_f64 v[129:130], v[129:130], s[6:7]
	v_add_f64 v[149:150], v[8:9], v[149:150]
	v_fma_f64 v[123:124], v[133:134], s[22:23], v[121:122]
	v_fma_f64 v[153:154], v[133:134], s[16:17], v[153:154]
	v_add_f64 v[157:158], v[165:166], v[157:158]
	v_add_f64 v[163:164], v[20:21], v[163:164]
	v_fma_f64 v[121:122], v[133:134], s[40:41], v[121:122]
	v_add_f64 v[141:142], v[161:162], v[141:142]
	v_mul_f64 v[161:162], v[119:120], s[18:19]
	v_add_f64 v[149:150], v[0:1], v[149:150]
	v_mul_f64 v[119:120], v[119:120], s[14:15]
	v_mul_f64 v[169:170], v[115:116], s[6:7]
	v_add_f64 v[157:158], v[171:172], v[157:158]
	v_add_f64 v[171:172], v[20:21], v[175:176]
	;; [unrolled: 1-line block ×3, first 2 shown]
	v_fma_f64 v[72:73], v[131:132], s[30:31], v[129:130]
	v_add_f64 v[153:154], v[153:154], v[163:164]
	v_add_f64 v[149:150], v[4:5], v[149:150]
	v_fma_f64 v[129:130], v[131:132], s[24:25], v[129:130]
	v_mul_f64 v[115:116], v[115:116], s[18:19]
	v_fma_f64 v[177:178], v[127:128], s[20:21], v[161:162]
	v_add_f64 v[123:124], v[123:124], v[171:172]
	v_add_f64 v[20:21], v[121:122], v[20:21]
	v_fma_f64 v[121:122], v[127:128], s[16:17], v[119:120]
	v_fma_f64 v[119:120], v[127:128], s[44:45], v[119:120]
	v_add_f64 v[133:134], v[12:13], v[149:150]
	v_fma_f64 v[149:150], v[131:132], s[28:29], v[159:160]
	v_fma_f64 v[131:132], v[127:128], s[36:37], v[161:162]
	v_mul_f64 v[155:156], v[109:110], s[18:19]
	v_add_f64 v[72:73], v[72:73], v[123:124]
	v_add_f64 v[20:21], v[129:130], v[20:21]
	v_mul_f64 v[165:166], v[109:110], s[8:9]
	v_mul_f64 v[109:110], v[109:110], s[26:27]
	v_add_f64 v[123:124], v[28:29], v[133:134]
	v_add_f64 v[133:134], v[149:150], v[153:154]
	v_fma_f64 v[127:128], v[117:118], s[20:21], v[115:116]
	v_fma_f64 v[173:174], v[117:118], s[30:31], v[169:170]
	v_add_f64 v[72:73], v[121:122], v[72:73]
	v_fma_f64 v[115:116], v[117:118], s[36:37], v[115:116]
	v_add_f64 v[20:21], v[119:120], v[20:21]
	;; [unrolled: 2-line block ×4, first 2 shown]
	v_add_f64 v[131:132], v[177:178], v[157:158]
	v_fma_f64 v[117:118], v[111:112], s[28:29], v[109:110]
	v_add_f64 v[72:73], v[127:128], v[72:73]
	v_fma_f64 v[155:156], v[111:112], s[20:21], v[155:156]
	v_fma_f64 v[137:138], v[111:112], s[40:41], v[137:138]
	v_add_f64 v[119:120], v[40:41], v[121:122]
	v_fma_f64 v[121:122], v[111:112], s[34:35], v[165:166]
	v_add_f64 v[123:124], v[123:124], v[129:130]
	;; [unrolled: 2-line block ×4, first 2 shown]
	v_add_f64 v[72:73], v[117:118], v[72:73]
	v_add_f64 v[111:112], v[44:45], v[119:120]
	;; [unrolled: 1-line block ×8, first 2 shown]
	v_add_u32_e32 v109, 0x2f88, v108
	ds_write2_b64 v109, v[111:112], v[72:73] offset1:1
	v_add_u32_e32 v72, 0x2f98, v108
	ds_write2_b64 v72, v[117:118], v[115:116] offset1:1
	;; [unrolled: 2-line block ×6, first 2 shown]
	ds_write_b64 v108, v[20:21] offset:12264
.LBB0_17:
	s_or_b64 exec, exec, s[46:47]
	v_add_f64 v[20:21], v[102:103], v[74:75]
	v_add_f64 v[72:73], v[100:101], -v[80:81]
	v_add_f64 v[80:81], v[82:83], v[102:103]
	v_add_f64 v[100:101], v[86:87], v[98:99]
	v_add_f64 v[84:85], v[96:97], -v[84:85]
	v_add_f64 v[88:89], v[88:89], -v[92:93]
	v_add_f64 v[96:97], v[94:95], v[90:91]
	v_add_f64 v[68:69], v[68:69], -v[76:77]
	v_add_f64 v[20:21], v[98:99], v[20:21]
	v_mul_f64 v[92:93], v[72:73], s[38:39]
	v_mul_f64 v[98:99], v[72:73], s[22:23]
	;; [unrolled: 1-line block ×7, first 2 shown]
	v_add_f64 v[20:21], v[90:91], v[20:21]
	v_mul_f64 v[117:118], v[84:85], s[16:17]
	v_mul_f64 v[90:91], v[84:85], s[28:29]
	v_fma_f64 v[131:132], v[80:81], s[8:9], -v[92:93]
	v_fma_f64 v[133:134], v[80:81], s[4:5], -v[98:99]
	v_fma_f64 v[98:99], v[80:81], s[4:5], v[98:99]
	v_fma_f64 v[135:136], v[80:81], s[6:7], -v[102:103]
	v_mul_f64 v[119:120], v[84:85], s[36:37]
	v_add_f64 v[20:21], v[70:71], v[20:21]
	v_mul_f64 v[121:122], v[84:85], s[24:25]
	v_mul_f64 v[84:85], v[84:85], s[34:35]
	v_mul_f64 v[123:124], v[88:89], s[30:31]
	v_mul_f64 v[127:128], v[88:89], s[44:45]
	v_fma_f64 v[92:93], v[80:81], s[8:9], v[92:93]
	v_fma_f64 v[102:103], v[80:81], s[6:7], v[102:103]
	v_fma_f64 v[137:138], v[80:81], s[14:15], -v[109:110]
	v_add_f64 v[20:21], v[62:63], v[20:21]
	v_fma_f64 v[109:110], v[80:81], s[14:15], v[109:110]
	v_fma_f64 v[139:140], v[80:81], s[18:19], -v[111:112]
	v_fma_f64 v[111:112], v[80:81], s[18:19], v[111:112]
	v_fma_f64 v[141:142], v[80:81], s[26:27], -v[72:73]
	;; [unrolled: 2-line block ×3, first 2 shown]
	v_fma_f64 v[143:144], v[100:101], s[14:15], -v[117:118]
	v_add_f64 v[20:21], v[54:55], v[20:21]
	v_fma_f64 v[117:118], v[100:101], s[14:15], v[117:118]
	v_fma_f64 v[145:146], v[100:101], s[26:27], -v[90:91]
	v_add_f64 v[131:132], v[74:75], v[131:132]
	v_add_f64 v[98:99], v[74:75], v[98:99]
	;; [unrolled: 1-line block ×3, first 2 shown]
	v_mul_f64 v[125:126], v[88:89], s[28:29]
	v_mul_f64 v[129:130], v[88:89], s[34:35]
	v_add_f64 v[20:21], v[58:59], v[20:21]
	v_fma_f64 v[115:116], v[100:101], s[4:5], v[115:116]
	v_fma_f64 v[90:91], v[100:101], s[26:27], v[90:91]
	v_fma_f64 v[147:148], v[100:101], s[18:19], -v[119:120]
	v_fma_f64 v[119:120], v[100:101], s[18:19], v[119:120]
	v_fma_f64 v[149:150], v[100:101], s[6:7], -v[121:122]
	;; [unrolled: 2-line block ×3, first 2 shown]
	v_add_f64 v[20:21], v[66:67], v[20:21]
	v_fma_f64 v[84:85], v[100:101], s[8:9], v[84:85]
	v_fma_f64 v[100:101], v[96:97], s[6:7], -v[123:124]
	v_fma_f64 v[155:156], v[96:97], s[14:15], -v[127:128]
	v_add_f64 v[92:93], v[74:75], v[92:93]
	v_add_f64 v[133:134], v[74:75], v[133:134]
	;; [unrolled: 1-line block ×11, first 2 shown]
	v_fma_f64 v[153:154], v[96:97], s[26:27], -v[125:126]
	v_add_f64 v[20:21], v[94:95], v[20:21]
	v_add_f64 v[94:95], v[117:118], v[98:99]
	v_add_f64 v[98:99], v[145:146], v[135:136]
	v_fma_f64 v[125:126], v[96:97], s[26:27], v[125:126]
	v_add_f64 v[80:81], v[115:116], v[92:93]
	v_add_f64 v[92:93], v[143:144], v[133:134]
	;; [unrolled: 1-line block ×7, first 2 shown]
	v_mul_f64 v[84:85], v[88:89], s[22:23]
	v_add_f64 v[76:77], v[155:156], v[98:99]
	v_fma_f64 v[98:99], v[96:97], s[8:9], v[129:130]
	v_fma_f64 v[123:124], v[96:97], s[6:7], v[123:124]
	v_add_f64 v[102:103], v[147:148], v[137:138]
	v_add_f64 v[100:101], v[82:83], v[20:21]
	v_fma_f64 v[20:21], v[96:97], s[14:15], v[127:128]
	v_add_f64 v[109:110], v[149:150], v[139:140]
	v_add_f64 v[111:112], v[121:122], v[111:112]
	;; [unrolled: 1-line block ×4, first 2 shown]
	v_fma_f64 v[94:95], v[96:97], s[8:9], -v[129:130]
	v_mul_f64 v[88:89], v[88:89], s[20:21]
	v_add_f64 v[70:71], v[78:79], v[70:71]
	v_add_f64 v[20:21], v[20:21], v[90:91]
	v_fma_f64 v[90:91], v[96:97], s[4:5], -v[84:85]
	v_mul_f64 v[78:79], v[68:69], s[16:17]
	v_fma_f64 v[84:85], v[96:97], s[4:5], v[84:85]
	v_add_f64 v[86:87], v[98:99], v[86:87]
	v_mul_f64 v[98:99], v[68:69], s[36:37]
	v_add_f64 v[80:81], v[123:124], v[80:81]
	v_add_f64 v[94:95], v[94:95], v[102:103]
	v_fma_f64 v[102:103], v[96:97], s[18:19], -v[88:89]
	v_fma_f64 v[88:89], v[96:97], s[18:19], v[88:89]
	v_add_f64 v[90:91], v[90:91], v[109:110]
	v_fma_f64 v[96:97], v[70:71], s[14:15], -v[78:79]
	v_add_f64 v[84:85], v[84:85], v[111:112]
	v_mul_f64 v[109:110], v[68:69], s[34:35]
	v_fma_f64 v[78:79], v[70:71], s[14:15], v[78:79]
	v_fma_f64 v[111:112], v[70:71], s[18:19], -v[98:99]
	v_add_f64 v[60:61], v[60:61], -v[64:65]
	v_add_f64 v[72:73], v[88:89], v[72:73]
	v_fma_f64 v[88:89], v[70:71], s[18:19], v[98:99]
	v_add_f64 v[74:75], v[96:97], v[74:75]
	v_mul_f64 v[96:97], v[68:69], s[30:31]
	v_fma_f64 v[98:99], v[70:71], s[8:9], -v[109:110]
	v_add_f64 v[78:79], v[78:79], v[80:81]
	v_add_f64 v[80:81], v[111:112], v[82:83]
	v_fma_f64 v[82:83], v[70:71], s[8:9], v[109:110]
	v_mul_f64 v[109:110], v[68:69], s[42:43]
	v_add_f64 v[88:89], v[88:89], v[92:93]
	v_mul_f64 v[68:69], v[68:69], s[40:41]
	v_fma_f64 v[64:65], v[70:71], s[6:7], -v[96:97]
	v_fma_f64 v[92:93], v[70:71], s[6:7], v[96:97]
	v_add_f64 v[62:63], v[66:67], v[62:63]
	v_mul_f64 v[66:67], v[60:61], s[20:21]
	v_add_f64 v[20:21], v[82:83], v[20:21]
	v_fma_f64 v[82:83], v[70:71], s[26:27], -v[109:110]
	v_mul_f64 v[96:97], v[60:61], s[24:25]
	v_add_f64 v[76:77], v[98:99], v[76:77]
	v_add_f64 v[64:65], v[64:65], v[94:95]
	v_fma_f64 v[94:95], v[70:71], s[26:27], v[109:110]
	v_add_f64 v[86:87], v[92:93], v[86:87]
	v_fma_f64 v[92:93], v[70:71], s[4:5], -v[68:69]
	v_fma_f64 v[68:69], v[70:71], s[4:5], v[68:69]
	v_add_f64 v[70:71], v[82:83], v[90:91]
	v_fma_f64 v[82:83], v[62:63], s[18:19], -v[66:67]
	v_mul_f64 v[90:91], v[60:61], s[22:23]
	v_fma_f64 v[66:67], v[62:63], s[18:19], v[66:67]
	v_add_f64 v[84:85], v[94:95], v[84:85]
	v_fma_f64 v[94:95], v[62:63], s[6:7], -v[96:97]
	v_add_f64 v[52:53], v[52:53], -v[56:57]
	v_add_f64 v[68:69], v[68:69], v[72:73]
	v_fma_f64 v[72:73], v[62:63], s[6:7], v[96:97]
	v_add_f64 v[74:75], v[82:83], v[74:75]
	v_fma_f64 v[82:83], v[62:63], s[4:5], -v[90:91]
	v_mul_f64 v[96:97], v[60:61], s[42:43]
	v_add_f64 v[66:67], v[66:67], v[78:79]
	v_fma_f64 v[78:79], v[62:63], s[4:5], v[90:91]
	v_add_f64 v[115:116], v[151:152], v[141:142]
	v_mul_f64 v[90:91], v[60:61], s[34:35]
	v_mul_f64 v[60:61], v[60:61], s[16:17]
	v_add_f64 v[54:55], v[58:59], v[54:55]
	v_add_f64 v[56:57], v[82:83], v[76:77]
	v_fma_f64 v[76:77], v[62:63], s[26:27], -v[96:97]
	v_mul_f64 v[58:59], v[52:53], s[28:29]
	v_add_f64 v[20:21], v[78:79], v[20:21]
	v_fma_f64 v[78:79], v[62:63], s[26:27], v[96:97]
	v_add_f64 v[102:103], v[102:103], v[115:116]
	v_add_f64 v[72:73], v[72:73], v[88:89]
	v_fma_f64 v[82:83], v[62:63], s[8:9], -v[90:91]
	v_fma_f64 v[88:89], v[62:63], s[8:9], v[90:91]
	v_add_f64 v[64:65], v[76:77], v[64:65]
	v_fma_f64 v[76:77], v[62:63], s[14:15], -v[60:61]
	v_mul_f64 v[90:91], v[52:53], s[34:35]
	v_fma_f64 v[60:61], v[62:63], s[14:15], v[60:61]
	v_add_f64 v[62:63], v[78:79], v[86:87]
	v_fma_f64 v[78:79], v[54:55], s[26:27], -v[58:59]
	v_fma_f64 v[58:59], v[54:55], s[26:27], v[58:59]
	v_add_f64 v[92:93], v[92:93], v[102:103]
	v_add_f64 v[80:81], v[94:95], v[80:81]
	;; [unrolled: 1-line block ×4, first 2 shown]
	v_fma_f64 v[84:85], v[54:55], s[8:9], -v[90:91]
	v_add_f64 v[60:61], v[60:61], v[68:69]
	v_fma_f64 v[68:69], v[54:55], s[8:9], v[90:91]
	v_mul_f64 v[86:87], v[52:53], s[20:21]
	v_add_f64 v[88:89], v[78:79], v[74:75]
	v_mul_f64 v[74:75], v[52:53], s[40:41]
	v_add_f64 v[90:91], v[58:59], v[66:67]
	v_mul_f64 v[58:59], v[52:53], s[16:17]
	v_mul_f64 v[52:53], v[52:53], s[24:25]
	v_add_f64 v[76:77], v[76:77], v[92:93]
	v_add_f64 v[92:93], v[84:85], v[80:81]
	v_fma_f64 v[66:67], v[54:55], s[18:19], -v[86:87]
	v_add_f64 v[94:95], v[68:69], v[72:73]
	v_fma_f64 v[72:73], v[54:55], s[4:5], -v[74:75]
	v_fma_f64 v[68:69], v[54:55], s[18:19], v[86:87]
	v_fma_f64 v[78:79], v[54:55], s[14:15], -v[58:59]
	v_fma_f64 v[80:81], v[54:55], s[6:7], -v[52:53]
	v_fma_f64 v[58:59], v[54:55], s[14:15], v[58:59]
	v_fma_f64 v[74:75], v[54:55], s[4:5], v[74:75]
	v_fma_f64 v[52:53], v[54:55], s[6:7], v[52:53]
	s_movk_i32 s4, 0xffa0
	v_add_f64 v[96:97], v[66:67], v[56:57]
	v_add_f64 v[102:103], v[72:73], v[64:65]
	;; [unrolled: 1-line block ×4, first 2 shown]
	v_mad_i32_i24 v80, v114, s4, v108
	v_add_f64 v[115:116], v[58:59], v[82:83]
	v_add_u32_e32 v82, 0xc00, v80
	v_add_u32_e32 v84, 0x2400, v80
	;; [unrolled: 1-line block ×6, first 2 shown]
	v_add_f64 v[98:99], v[68:69], v[20:21]
	v_add_f64 v[109:110], v[74:75], v[62:63]
	;; [unrolled: 1-line block ×3, first 2 shown]
	s_waitcnt lgkmcnt(0)
	s_barrier
	ds_read2_b64 v[60:63], v80 offset1:117
	ds_read2_b64 v[52:55], v82 offset0:84 offset1:201
	ds_read2_b64 v[76:79], v84 offset0:18 offset1:135
	;; [unrolled: 1-line block ×6, first 2 shown]
	ds_read_b64 v[20:21], v80 offset:13104
	v_add_u32_e32 v81, 0x75, v114
	s_waitcnt lgkmcnt(0)
	s_barrier
	ds_write2_b64 v108, v[100:101], v[88:89] offset1:1
	ds_write2_b64 v108, v[92:93], v[96:97] offset0:2 offset1:3
	ds_write2_b64 v108, v[102:103], v[111:112] offset0:4 offset1:5
	;; [unrolled: 1-line block ×5, first 2 shown]
	ds_write_b64 v108, v[90:91] offset:96
	s_and_saveexec_b64 s[4:5], vcc
	s_cbranch_execz .LBB0_19
; %bb.18:
	v_add_f64 v[88:89], v[50:51], v[22:23]
	v_add_f64 v[44:45], v[48:49], -v[44:45]
	v_add_f64 v[32:33], v[32:33], -v[40:41]
	s_mov_b32 s26, 0x42a4c3d2
	s_mov_b32 s27, 0xbfea55e2
	v_add_f64 v[50:51], v[46:47], v[50:51]
	s_mov_b32 s6, 0x1ea71119
	s_mov_b32 s36, 0x66966769
	v_add_f64 v[48:49], v[34:35], v[88:89]
	v_mul_f64 v[88:89], v[44:45], s[26:27]
	s_mov_b32 s22, 0x2ef20147
	s_mov_b32 s24, 0x24c2f84
	s_mov_b32 s19, 0xbfddbe06
	s_mov_b32 s18, 0x4267c47c
	s_mov_b32 s7, 0x3fe22d96
	s_mov_b32 s37, 0xbfefc445
	v_add_f64 v[48:49], v[26:27], v[48:49]
	s_mov_b32 s23, 0xbfedeba7
	s_mov_b32 s25, 0xbfe5384d
	v_add_f64 v[34:35], v[42:43], v[34:35]
	v_mul_f64 v[90:91], v[44:45], s[36:37]
	v_mul_f64 v[92:93], v[44:45], s[22:23]
	;; [unrolled: 1-line block ×4, first 2 shown]
	v_add_f64 v[48:49], v[18:19], v[48:49]
	v_fma_f64 v[112:113], v[50:51], s[6:7], -v[88:89]
	v_fma_f64 v[88:89], v[50:51], s[6:7], v[88:89]
	s_mov_b32 s14, 0xe00740e9
	s_mov_b32 s8, 0xebaa3ed8
	;; [unrolled: 1-line block ×5, first 2 shown]
	v_add_f64 v[40:41], v[10:11], v[48:49]
	v_mul_f64 v[48:49], v[44:45], s[18:19]
	s_mov_b32 s15, 0x3fec55a7
	s_mov_b32 s9, 0x3fbedb7d
	;; [unrolled: 1-line block ×6, first 2 shown]
	v_add_f64 v[40:41], v[2:3], v[40:41]
	s_mov_b32 s29, 0x3fefc445
	s_mov_b32 s38, s24
	;; [unrolled: 1-line block ×3, first 2 shown]
	v_mul_f64 v[44:45], v[44:45], s[34:35]
	v_mul_f64 v[96:97], v[32:33], s[26:27]
	;; [unrolled: 1-line block ×4, first 2 shown]
	v_add_f64 v[40:41], v[6:7], v[40:41]
	v_mul_f64 v[108:109], v[32:33], s[28:29]
	v_fma_f64 v[110:111], v[50:51], s[14:15], -v[48:49]
	v_fma_f64 v[48:49], v[50:51], s[14:15], v[48:49]
	v_fma_f64 v[115:116], v[50:51], s[8:9], -v[90:91]
	v_fma_f64 v[90:91], v[50:51], s[8:9], v[90:91]
	;; [unrolled: 2-line block ×3, first 2 shown]
	v_add_f64 v[40:41], v[14:15], v[40:41]
	v_fma_f64 v[119:120], v[50:51], s[20:21], -v[94:95]
	v_fma_f64 v[123:124], v[34:35], s[16:17], -v[98:99]
	v_fma_f64 v[98:99], v[34:35], s[16:17], v[98:99]
	v_add_f64 v[88:89], v[22:23], v[88:89]
	v_add_f64 v[24:25], v[24:25], -v[36:37]
	s_mov_b32 s30, 0x93053d00
	s_mov_b32 s31, 0xbfef11f4
	v_add_f64 v[40:41], v[30:31], v[40:41]
	s_mov_b32 s19, 0x3fddbe06
	v_fma_f64 v[94:95], v[50:51], s[20:21], v[94:95]
	v_fma_f64 v[121:122], v[50:51], s[30:31], -v[44:45]
	v_fma_f64 v[44:45], v[50:51], s[30:31], v[44:45]
	v_fma_f64 v[50:51], v[34:35], s[6:7], -v[96:97]
	;; [unrolled: 2-line block ×3, first 2 shown]
	v_add_f64 v[40:41], v[38:39], v[40:41]
	v_add_f64 v[48:49], v[22:23], v[48:49]
	;; [unrolled: 1-line block ×7, first 2 shown]
	v_fma_f64 v[98:99], v[34:35], s[20:21], -v[102:103]
	v_add_f64 v[40:41], v[42:43], v[40:41]
	v_mul_f64 v[32:33], v[32:33], s[18:19]
	v_add_f64 v[26:27], v[38:39], v[26:27]
	v_mul_f64 v[38:39], v[24:25], s[36:37]
	s_mov_b32 s41, 0x3fedeba7
	s_mov_b32 s40, s22
	v_add_f64 v[110:111], v[22:23], v[110:111]
	v_add_f64 v[112:113], v[22:23], v[112:113]
	;; [unrolled: 1-line block ×3, first 2 shown]
	v_fma_f64 v[46:47], v[34:35], s[30:31], v[100:101]
	v_fma_f64 v[100:101], v[34:35], s[20:21], v[102:103]
	v_fma_f64 v[102:103], v[34:35], s[8:9], -v[108:109]
	v_add_f64 v[115:116], v[22:23], v[115:116]
	v_add_f64 v[94:95], v[22:23], v[94:95]
	;; [unrolled: 1-line block ×5, first 2 shown]
	v_fma_f64 v[108:109], v[34:35], s[8:9], v[108:109]
	v_add_f64 v[36:37], v[46:47], v[90:91]
	v_add_f64 v[46:47], v[98:99], v[117:118]
	;; [unrolled: 1-line block ×4, first 2 shown]
	v_fma_f64 v[98:99], v[34:35], s[14:15], -v[32:33]
	v_fma_f64 v[32:33], v[34:35], s[14:15], v[32:33]
	v_mul_f64 v[100:101], v[24:25], s[40:41]
	v_fma_f64 v[102:103], v[26:27], s[8:9], -v[38:39]
	v_fma_f64 v[38:39], v[26:27], s[8:9], v[38:39]
	v_add_f64 v[44:45], v[50:51], v[110:111]
	v_add_f64 v[94:95], v[108:109], v[94:95]
	v_mul_f64 v[34:35], v[24:25], s[34:35]
	v_add_f64 v[16:17], v[16:17], -v[28:29]
	v_add_f64 v[22:23], v[32:33], v[22:23]
	v_mul_f64 v[32:33], v[24:25], s[18:19]
	v_fma_f64 v[108:109], v[26:27], s[16:17], -v[100:101]
	v_add_f64 v[38:39], v[38:39], v[48:49]
	v_fma_f64 v[48:49], v[26:27], s[16:17], v[100:101]
	v_mul_f64 v[100:101], v[24:25], s[26:27]
	v_add_f64 v[44:45], v[102:103], v[44:45]
	v_add_f64 v[50:51], v[123:124], v[112:113]
	;; [unrolled: 1-line block ×3, first 2 shown]
	v_fma_f64 v[102:103], v[26:27], s[14:15], -v[32:33]
	v_fma_f64 v[28:29], v[26:27], s[14:15], v[32:33]
	v_add_f64 v[42:43], v[98:99], v[42:43]
	v_add_f64 v[32:33], v[48:49], v[36:37]
	v_fma_f64 v[36:37], v[26:27], s[6:7], -v[100:101]
	v_fma_f64 v[98:99], v[26:27], s[30:31], -v[34:35]
	v_fma_f64 v[34:35], v[26:27], s[30:31], v[34:35]
	v_mul_f64 v[24:25], v[24:25], s[24:25]
	v_add_f64 v[18:19], v[30:31], v[18:19]
	v_mul_f64 v[30:31], v[16:17], s[22:23]
	v_fma_f64 v[48:49], v[26:27], s[6:7], v[100:101]
	v_add_f64 v[28:29], v[28:29], v[90:91]
	v_add_f64 v[36:37], v[36:37], v[92:93]
	v_mul_f64 v[92:93], v[16:17], s[18:19]
	v_add_f64 v[50:51], v[98:99], v[50:51]
	v_add_f64 v[34:35], v[34:35], v[88:89]
	;; [unrolled: 1-line block ×3, first 2 shown]
	v_mul_f64 v[90:91], v[16:17], s[38:39]
	v_fma_f64 v[96:97], v[26:27], s[20:21], -v[24:25]
	v_fma_f64 v[24:25], v[26:27], s[20:21], v[24:25]
	v_fma_f64 v[26:27], v[18:19], s[16:17], -v[30:31]
	v_fma_f64 v[30:31], v[18:19], s[16:17], v[30:31]
	v_fma_f64 v[98:99], v[18:19], s[14:15], -v[92:93]
	s_mov_b32 s39, 0x3fcea1e5
	s_mov_b32 s38, s34
	v_add_f64 v[48:49], v[48:49], v[94:95]
	v_fma_f64 v[94:95], v[18:19], s[20:21], -v[90:91]
	v_add_f64 v[42:43], v[96:97], v[42:43]
	v_mul_f64 v[96:97], v[16:17], s[36:37]
	v_add_f64 v[22:23], v[24:25], v[22:23]
	v_add_f64 v[24:25], v[26:27], v[44:45]
	;; [unrolled: 1-line block ×4, first 2 shown]
	v_fma_f64 v[44:45], v[18:19], s[14:15], v[92:93]
	v_mul_f64 v[88:89], v[16:17], s[38:39]
	v_add_f64 v[8:9], v[8:9], -v[12:13]
	s_mov_b32 s37, 0x3fea55e2
	s_mov_b32 s36, s26
	v_add_f64 v[46:47], v[102:103], v[46:47]
	v_fma_f64 v[90:91], v[18:19], s[20:21], v[90:91]
	v_add_f64 v[30:31], v[94:95], v[50:51]
	v_fma_f64 v[50:51], v[18:19], s[8:9], -v[96:97]
	v_mul_f64 v[12:13], v[16:17], s[36:37]
	v_add_f64 v[16:17], v[44:45], v[32:33]
	v_fma_f64 v[44:45], v[18:19], s[30:31], -v[88:89]
	v_add_f64 v[10:11], v[14:15], v[10:11]
	v_mul_f64 v[14:15], v[8:9], s[24:25]
	v_add_f64 v[34:35], v[90:91], v[34:35]
	v_fma_f64 v[90:91], v[18:19], s[8:9], v[96:97]
	v_add_f64 v[32:33], v[50:51], v[46:47]
	v_fma_f64 v[46:47], v[18:19], s[30:31], v[88:89]
	v_fma_f64 v[50:51], v[18:19], s[6:7], -v[12:13]
	v_fma_f64 v[12:13], v[18:19], s[6:7], v[12:13]
	v_add_f64 v[18:19], v[44:45], v[36:37]
	v_mul_f64 v[36:37], v[8:9], s[26:27]
	v_fma_f64 v[44:45], v[10:11], s[20:21], -v[14:15]
	v_fma_f64 v[14:15], v[10:11], s[20:21], v[14:15]
	v_mul_f64 v[88:89], v[8:9], s[28:29]
	v_add_f64 v[0:1], v[0:1], -v[4:5]
	v_add_f64 v[42:43], v[50:51], v[42:43]
	v_add_f64 v[12:13], v[12:13], v[22:23]
	v_mul_f64 v[4:5], v[8:9], s[22:23]
	v_fma_f64 v[50:51], v[10:11], s[6:7], -v[36:37]
	v_add_f64 v[24:25], v[44:45], v[24:25]
	v_add_f64 v[14:15], v[14:15], v[26:27]
	v_fma_f64 v[26:27], v[10:11], s[6:7], v[36:37]
	v_mul_f64 v[36:37], v[8:9], s[38:39]
	v_fma_f64 v[22:23], v[10:11], s[8:9], v[88:89]
	v_mul_f64 v[44:45], v[8:9], s[18:19]
	v_add_f64 v[2:3], v[6:7], v[2:3]
	v_mul_f64 v[6:7], v[0:1], s[34:35]
	v_add_f64 v[28:29], v[90:91], v[28:29]
	v_add_f64 v[46:47], v[46:47], v[48:49]
	;; [unrolled: 1-line block ×3, first 2 shown]
	v_fma_f64 v[16:17], v[10:11], s[30:31], -v[36:37]
	v_fma_f64 v[48:49], v[10:11], s[8:9], -v[88:89]
	v_add_f64 v[22:23], v[22:23], v[34:35]
	v_add_f64 v[34:35], v[50:51], v[38:39]
	v_fma_f64 v[26:27], v[10:11], s[30:31], v[36:37]
	v_fma_f64 v[36:37], v[10:11], s[14:15], -v[44:45]
	v_fma_f64 v[38:39], v[10:11], s[14:15], v[44:45]
	v_fma_f64 v[44:45], v[10:11], s[16:17], -v[4:5]
	v_fma_f64 v[4:5], v[10:11], s[16:17], v[4:5]
	v_add_f64 v[10:11], v[16:17], v[32:33]
	v_mul_f64 v[16:17], v[0:1], s[18:19]
	v_fma_f64 v[32:33], v[2:3], s[30:31], -v[6:7]
	v_add_f64 v[26:27], v[26:27], v[28:29]
	v_fma_f64 v[6:7], v[2:3], s[30:31], v[6:7]
	v_add_f64 v[28:29], v[38:39], v[46:47]
	v_mul_f64 v[38:39], v[0:1], s[24:25]
	v_add_f64 v[4:5], v[4:5], v[12:13]
	v_add_f64 v[30:31], v[48:49], v[30:31]
	v_fma_f64 v[12:13], v[2:3], s[14:15], -v[16:17]
	v_fma_f64 v[16:17], v[2:3], s[14:15], v[16:17]
	v_add_f64 v[18:19], v[36:37], v[18:19]
	v_add_f64 v[36:37], v[44:45], v[42:43]
	v_mul_f64 v[42:43], v[0:1], s[36:37]
	v_add_f64 v[24:25], v[32:33], v[24:25]
	v_mul_f64 v[32:33], v[0:1], s[22:23]
	v_mul_f64 v[0:1], v[0:1], s[28:29]
	v_add_f64 v[6:7], v[6:7], v[14:15]
	v_add_f64 v[14:15], v[16:17], v[22:23]
	v_fma_f64 v[16:17], v[2:3], s[20:21], -v[38:39]
	v_add_f64 v[12:13], v[12:13], v[30:31]
	v_fma_f64 v[22:23], v[2:3], s[6:7], -v[42:43]
	v_fma_f64 v[30:31], v[2:3], s[6:7], v[42:43]
	v_fma_f64 v[42:43], v[2:3], s[16:17], -v[32:33]
	v_fma_f64 v[44:45], v[2:3], s[8:9], -v[0:1]
	v_fma_f64 v[0:1], v[2:3], s[8:9], v[0:1]
	v_fma_f64 v[32:33], v[2:3], s[16:17], v[32:33]
	;; [unrolled: 1-line block ×3, first 2 shown]
	v_add_f64 v[16:17], v[16:17], v[34:35]
	v_add_f64 v[10:11], v[22:23], v[10:11]
	;; [unrolled: 1-line block ×8, first 2 shown]
	s_movk_i32 s6, 0x68
	v_mad_u32_u24 v8, v81, s6, 0
	ds_write2_b64 v8, v[40:41], v[24:25] offset1:1
	ds_write2_b64 v8, v[12:13], v[16:17] offset0:2 offset1:3
	ds_write2_b64 v8, v[10:11], v[18:19] offset0:4 offset1:5
	;; [unrolled: 1-line block ×5, first 2 shown]
	ds_write_b64 v8, v[6:7] offset:96
.LBB0_19:
	s_or_b64 exec, exec, s[4:5]
	s_movk_i32 s4, 0x4f
	v_mul_lo_u16_sdwa v2, v114, s4 dst_sel:DWORD dst_unused:UNUSED_PAD src0_sel:BYTE_0 src1_sel:DWORD
	v_lshrrev_b16_e32 v137, 10, v2
	v_mul_lo_u16_e32 v2, 13, v137
	v_sub_u16_e32 v138, v114, v2
	v_mov_b32_e32 v139, 5
	v_lshlrev_b32_sdwa v10, v139, v138 dst_sel:DWORD dst_unused:UNUSED_PAD src0_sel:DWORD src1_sel:BYTE_0
	s_waitcnt lgkmcnt(0)
	s_barrier
	global_load_dwordx4 v[2:5], v10, s[12:13] offset:16
	global_load_dwordx4 v[6:9], v10, s[12:13]
	v_mul_lo_u16_sdwa v10, v81, s4 dst_sel:DWORD dst_unused:UNUSED_PAD src0_sel:BYTE_0 src1_sel:DWORD
	v_lshrrev_b16_e32 v140, 10, v10
	v_mul_lo_u16_e32 v10, 13, v140
	v_sub_u16_e32 v141, v81, v10
	v_add_u32_e32 v30, 0xea, v114
	v_lshlrev_b32_sdwa v18, v139, v141 dst_sel:DWORD dst_unused:UNUSED_PAD src0_sel:DWORD src1_sel:BYTE_0
	s_movk_i32 s4, 0x4ec5
	global_load_dwordx4 v[10:13], v18, s[12:13] offset:16
	global_load_dwordx4 v[14:17], v18, s[12:13]
	v_mul_u32_u24_sdwa v18, v30, s4 dst_sel:DWORD dst_unused:UNUSED_PAD src0_sel:WORD_0 src1_sel:DWORD
	v_lshrrev_b32_e32 v142, 18, v18
	v_mul_lo_u16_e32 v18, 13, v142
	v_sub_u16_e32 v143, v30, v18
	v_add_u32_e32 v1, 0x15f, v114
	v_lshlrev_b32_e32 v18, 5, v143
	global_load_dwordx4 v[22:25], v18, s[12:13] offset:16
	global_load_dwordx4 v[26:29], v18, s[12:13]
	v_mul_u32_u24_sdwa v18, v1, s4 dst_sel:DWORD dst_unused:UNUSED_PAD src0_sel:WORD_0 src1_sel:DWORD
	v_lshrrev_b32_e32 v144, 18, v18
	v_mul_lo_u16_e32 v18, 13, v144
	v_sub_u16_e32 v145, v1, v18
	v_add_u32_e32 v0, 0x1d4, v114
	v_lshlrev_b32_e32 v18, 5, v145
	global_load_dwordx4 v[31:34], v18, s[12:13] offset:16
	global_load_dwordx4 v[35:38], v18, s[12:13]
	v_mul_u32_u24_sdwa v18, v0, s4 dst_sel:DWORD dst_unused:UNUSED_PAD src0_sel:WORD_0 src1_sel:DWORD
	v_lshrrev_b32_e32 v146, 18, v18
	v_mul_lo_u16_e32 v18, 13, v146
	v_sub_u16_e32 v147, v0, v18
	v_lshlrev_b32_e32 v18, 5, v147
	global_load_dwordx4 v[39:42], v18, s[12:13]
	global_load_dwordx4 v[43:46], v18, s[12:13] offset:16
	ds_read2_b64 v[47:50], v80 offset1:117
	ds_read2_b64 v[88:91], v82 offset0:84 offset1:201
	ds_read2_b64 v[92:95], v84 offset0:18 offset1:135
	;; [unrolled: 1-line block ×6, first 2 shown]
	ds_read_b64 v[18:19], v80 offset:13104
	s_mov_b32 s4, 0xe8584caa
	s_mov_b32 s5, 0xbfebb67a
	;; [unrolled: 1-line block ×4, first 2 shown]
	s_waitcnt vmcnt(0) lgkmcnt(0)
	s_barrier
	s_movk_i32 s8, 0xa5
	s_movk_i32 s14, 0x2000
	v_mul_f64 v[119:120], v[92:93], v[4:5]
	v_mul_f64 v[112:113], v[90:91], v[8:9]
	;; [unrolled: 1-line block ×8, first 2 shown]
	v_fma_f64 v[54:55], v[54:55], v[6:7], v[112:113]
	v_fma_f64 v[6:7], v[90:91], v[6:7], -v[8:9]
	v_fma_f64 v[8:9], v[76:77], v[2:3], v[119:120]
	v_mul_f64 v[127:128], v[108:109], v[24:25]
	v_mul_f64 v[125:126], v[98:99], v[28:29]
	;; [unrolled: 1-line block ×4, first 2 shown]
	v_fma_f64 v[2:3], v[92:93], v[2:3], -v[4:5]
	v_fma_f64 v[4:5], v[72:73], v[14:15], v[121:122]
	v_fma_f64 v[14:15], v[96:97], v[14:15], -v[16:17]
	v_mul_f64 v[131:132], v[110:111], v[33:34]
	v_mul_f64 v[129:130], v[115:116], v[37:38]
	;; [unrolled: 1-line block ×4, first 2 shown]
	v_fma_f64 v[16:17], v[78:79], v[10:11], v[123:124]
	v_fma_f64 v[10:11], v[94:95], v[10:11], -v[12:13]
	v_mul_f64 v[133:134], v[117:118], v[41:42]
	v_mul_f64 v[41:42], v[66:67], v[41:42]
	;; [unrolled: 1-line block ×4, first 2 shown]
	v_fma_f64 v[12:13], v[74:75], v[26:27], v[125:126]
	v_fma_f64 v[26:27], v[98:99], v[26:27], -v[28:29]
	v_fma_f64 v[28:29], v[68:69], v[22:23], v[127:128]
	v_fma_f64 v[22:23], v[108:109], v[22:23], -v[24:25]
	;; [unrolled: 2-line block ×6, first 2 shown]
	v_add_f64 v[41:42], v[60:61], v[54:55]
	v_add_f64 v[43:44], v[54:55], v[8:9]
	v_add_f64 v[64:65], v[47:48], v[6:7]
	v_add_f64 v[68:69], v[4:5], v[16:17]
	v_add_f64 v[70:71], v[14:15], -v[10:11]
	v_add_f64 v[72:73], v[49:50], v[14:15]
	v_add_f64 v[14:15], v[14:15], v[10:11]
	v_add_f64 v[45:46], v[6:7], -v[2:3]
	v_add_f64 v[6:7], v[6:7], v[2:3]
	v_add_f64 v[66:67], v[62:63], v[4:5]
	v_add_f64 v[54:55], v[54:55], -v[8:9]
	v_fma_f64 v[43:44], v[43:44], -0.5, v[60:61]
	v_add_f64 v[60:61], v[12:13], v[28:29]
	v_add_f64 v[8:9], v[41:42], v[8:9]
	;; [unrolled: 1-line block ×3, first 2 shown]
	v_fma_f64 v[2:3], v[68:69], -0.5, v[62:63]
	v_fma_f64 v[14:15], v[14:15], -0.5, v[49:50]
	v_add_f64 v[4:5], v[4:5], -v[16:17]
	v_add_f64 v[62:63], v[72:73], v[10:11]
	v_add_f64 v[10:11], v[26:27], v[22:23]
	v_fma_f64 v[6:7], v[6:7], -0.5, v[47:48]
	v_add_f64 v[47:48], v[66:67], v[16:17]
	v_add_f64 v[16:17], v[56:57], v[12:13]
	;; [unrolled: 1-line block ×3, first 2 shown]
	v_fma_f64 v[56:57], v[60:61], -0.5, v[56:57]
	v_add_f64 v[60:61], v[26:27], -v[22:23]
	v_fma_f64 v[64:65], v[4:5], s[6:7], v[14:15]
	v_fma_f64 v[68:69], v[4:5], s[4:5], v[14:15]
	v_add_f64 v[4:5], v[100:101], v[26:27]
	v_fma_f64 v[10:11], v[10:11], -0.5, v[100:101]
	v_add_f64 v[12:13], v[12:13], -v[28:29]
	v_add_f64 v[14:15], v[16:17], v[28:29]
	v_add_f64 v[26:27], v[58:59], v[24:25]
	v_fma_f64 v[28:29], v[66:67], -0.5, v[58:59]
	v_add_f64 v[58:59], v[35:36], -v[31:32]
	v_fma_f64 v[49:50], v[45:46], s[4:5], v[43:44]
	v_fma_f64 v[43:44], v[45:46], s[6:7], v[43:44]
	;; [unrolled: 1-line block ×8, first 2 shown]
	v_add_f64 v[60:61], v[4:5], v[22:23]
	v_fma_f64 v[66:67], v[12:13], s[6:7], v[10:11]
	v_add_f64 v[4:5], v[35:36], v[31:32]
	v_fma_f64 v[70:71], v[12:13], s[4:5], v[10:11]
	v_add_f64 v[12:13], v[33:34], v[20:21]
	v_add_f64 v[10:11], v[26:27], v[37:38]
	v_fma_f64 v[22:23], v[58:59], s[4:5], v[28:29]
	v_fma_f64 v[26:27], v[58:59], s[6:7], v[28:29]
	v_add_f64 v[28:29], v[39:40], v[18:19]
	v_add_f64 v[35:36], v[102:103], v[35:36]
	v_fma_f64 v[4:5], v[4:5], -0.5, v[102:103]
	v_add_f64 v[24:25], v[24:25], -v[37:38]
	v_add_f64 v[37:38], v[52:53], v[33:34]
	v_fma_f64 v[12:13], v[12:13], -0.5, v[52:53]
	v_add_f64 v[51:52], v[39:40], -v[18:19]
	;; [unrolled: 3-line block ×3, first 2 shown]
	v_mov_b32_e32 v79, 3
	v_add_f64 v[31:32], v[35:36], v[31:32]
	v_fma_f64 v[35:36], v[24:25], s[6:7], v[4:5]
	v_fma_f64 v[58:59], v[24:25], s[4:5], v[4:5]
	v_add_f64 v[4:5], v[37:38], v[20:21]
	v_fma_f64 v[20:21], v[51:52], s[4:5], v[12:13]
	v_add_f64 v[37:38], v[39:40], v[18:19]
	v_mul_u32_u24_e32 v18, 0x138, v137
	v_lshlrev_b32_sdwa v19, v79, v138 dst_sel:DWORD dst_unused:UNUSED_PAD src0_sel:DWORD src1_sel:BYTE_0
	v_fma_f64 v[12:13], v[51:52], s[6:7], v[12:13]
	v_add3_u32 v51, 0, v18, v19
	ds_write2_b64 v51, v[8:9], v[49:50] offset1:13
	ds_write_b64 v51, v[43:44] offset:208
	v_mul_u32_u24_e32 v8, 0x138, v140
	v_lshlrev_b32_sdwa v9, v79, v141 dst_sel:DWORD dst_unused:UNUSED_PAD src0_sel:DWORD src1_sel:BYTE_0
	v_add3_u32 v43, 0, v8, v9
	ds_write2_b64 v43, v[47:48], v[6:7] offset1:13
	ds_write_b64 v43, v[2:3] offset:208
	v_mul_u32_u24_e32 v2, 0x138, v142
	v_lshlrev_b32_e32 v3, 3, v143
	v_add3_u32 v44, 0, v2, v3
	v_mul_u32_u24_e32 v2, 0x138, v144
	v_lshlrev_b32_e32 v3, 3, v145
	v_add3_u32 v47, 0, v2, v3
	v_mul_u32_u24_e32 v2, 0x138, v146
	v_lshlrev_b32_e32 v3, 3, v147
	v_fma_f64 v[39:40], v[33:34], s[6:7], v[28:29]
	v_add3_u32 v48, 0, v2, v3
	v_fma_f64 v[33:34], v[33:34], s[4:5], v[28:29]
	ds_write2_b64 v44, v[14:15], v[16:17] offset1:13
	ds_write_b64 v44, v[56:57] offset:208
	ds_write2_b64 v47, v[10:11], v[22:23] offset1:13
	ds_write_b64 v47, v[26:27] offset:208
	;; [unrolled: 2-line block ×3, first 2 shown]
	s_waitcnt lgkmcnt(0)
	s_barrier
	ds_read2_b64 v[2:5], v80 offset1:117
	ds_read2_b64 v[6:9], v82 offset0:84 offset1:201
	ds_read2_b64 v[10:13], v84 offset0:18 offset1:135
	;; [unrolled: 1-line block ×6, first 2 shown]
	ds_read_b64 v[112:113], v80 offset:13104
	s_waitcnt lgkmcnt(0)
	s_barrier
	ds_write2_b64 v51, v[41:42], v[45:46] offset1:13
	ds_write_b64 v51, v[54:55] offset:208
	ds_write2_b64 v43, v[62:63], v[64:65] offset1:13
	ds_write_b64 v43, v[68:69] offset:208
	;; [unrolled: 2-line block ×5, first 2 shown]
	v_mul_lo_u16_sdwa v31, v114, s8 dst_sel:DWORD dst_unused:UNUSED_PAD src0_sel:BYTE_0 src1_sel:DWORD
	v_mul_lo_u16_sdwa v39, v81, s8 dst_sel:DWORD dst_unused:UNUSED_PAD src0_sel:BYTE_0 src1_sel:DWORD
	v_sub_u16_sdwa v32, v114, v31 dst_sel:DWORD dst_unused:UNUSED_PAD src0_sel:DWORD src1_sel:BYTE_1
	v_sub_u16_sdwa v40, v81, v39 dst_sel:DWORD dst_unused:UNUSED_PAD src0_sel:DWORD src1_sel:BYTE_1
	v_lshrrev_b16_e32 v32, 1, v32
	v_lshrrev_b16_e32 v40, 1, v40
	v_and_b32_e32 v32, 0x7f, v32
	v_and_b32_e32 v40, 0x7f, v40
	v_add_u16_sdwa v31, v32, v31 dst_sel:DWORD dst_unused:UNUSED_PAD src0_sel:DWORD src1_sel:BYTE_1
	v_add_u16_sdwa v39, v40, v39 dst_sel:DWORD dst_unused:UNUSED_PAD src0_sel:DWORD src1_sel:BYTE_1
	v_lshrrev_b16_e32 v31, 5, v31
	v_lshrrev_b16_e32 v39, 5, v39
	v_and_b32_e32 v123, 7, v31
	v_and_b32_e32 v125, 7, v39
	v_mul_lo_u16_e32 v31, 39, v123
	v_mul_lo_u16_e32 v39, 39, v125
	v_sub_u16_e32 v124, v114, v31
	v_sub_u16_e32 v126, v81, v39
	v_lshlrev_b32_sdwa v35, v139, v124 dst_sel:DWORD dst_unused:UNUSED_PAD src0_sel:DWORD src1_sel:BYTE_0
	v_lshlrev_b32_sdwa v47, v139, v126 dst_sel:DWORD dst_unused:UNUSED_PAD src0_sel:DWORD src1_sel:BYTE_0
	s_mov_b32 s8, 0xa41b
	s_waitcnt lgkmcnt(0)
	s_barrier
	global_load_dwordx4 v[31:34], v35, s[12:13] offset:432
	s_nop 0
	global_load_dwordx4 v[35:38], v35, s[12:13] offset:416
	s_nop 0
	global_load_dwordx4 v[39:42], v47, s[12:13] offset:432
	global_load_dwordx4 v[43:46], v47, s[12:13] offset:416
	v_mul_u32_u24_sdwa v47, v30, s8 dst_sel:DWORD dst_unused:UNUSED_PAD src0_sel:WORD_0 src1_sel:DWORD
	v_sub_u16_sdwa v48, v30, v47 dst_sel:DWORD dst_unused:UNUSED_PAD src0_sel:DWORD src1_sel:WORD_1
	v_lshrrev_b16_e32 v48, 1, v48
	v_add_u16_sdwa v47, v48, v47 dst_sel:DWORD dst_unused:UNUSED_PAD src0_sel:DWORD src1_sel:WORD_1
	v_lshrrev_b16_e32 v127, 5, v47
	v_mul_lo_u16_e32 v47, 39, v127
	v_sub_u16_e32 v128, v30, v47
	v_lshlrev_b32_e32 v55, 5, v128
	global_load_dwordx4 v[47:50], v55, s[12:13] offset:432
	global_load_dwordx4 v[51:54], v55, s[12:13] offset:416
	v_mul_u32_u24_sdwa v55, v1, s8 dst_sel:DWORD dst_unused:UNUSED_PAD src0_sel:WORD_0 src1_sel:DWORD
	v_sub_u16_sdwa v56, v1, v55 dst_sel:DWORD dst_unused:UNUSED_PAD src0_sel:DWORD src1_sel:WORD_1
	v_lshrrev_b16_e32 v56, 1, v56
	v_add_u16_sdwa v55, v56, v55 dst_sel:DWORD dst_unused:UNUSED_PAD src0_sel:DWORD src1_sel:WORD_1
	v_lshrrev_b16_e32 v129, 5, v55
	v_mul_lo_u16_e32 v55, 39, v129
	v_sub_u16_e32 v130, v1, v55
	v_lshlrev_b32_e32 v63, 5, v130
	global_load_dwordx4 v[55:58], v63, s[12:13] offset:432
	global_load_dwordx4 v[59:62], v63, s[12:13] offset:416
	v_mul_u32_u24_sdwa v63, v0, s8 dst_sel:DWORD dst_unused:UNUSED_PAD src0_sel:WORD_0 src1_sel:DWORD
	v_sub_u16_sdwa v64, v0, v63 dst_sel:DWORD dst_unused:UNUSED_PAD src0_sel:DWORD src1_sel:WORD_1
	v_lshrrev_b16_e32 v64, 1, v64
	v_add_u16_sdwa v63, v64, v63 dst_sel:DWORD dst_unused:UNUSED_PAD src0_sel:DWORD src1_sel:WORD_1
	v_lshrrev_b16_e32 v131, 5, v63
	v_mul_lo_u16_e32 v63, 39, v131
	v_sub_u16_e32 v132, v0, v63
	v_lshlrev_b32_e32 v71, 5, v132
	global_load_dwordx4 v[63:66], v71, s[12:13] offset:416
	global_load_dwordx4 v[67:70], v71, s[12:13] offset:432
	ds_read2_b64 v[71:74], v82 offset0:84 offset1:201
	ds_read2_b64 v[75:78], v80 offset1:117
	ds_read2_b64 v[88:91], v84 offset0:18 offset1:135
	ds_read2_b64 v[92:95], v85 offset0:62 offset1:179
	;; [unrolled: 1-line block ×5, first 2 shown]
	ds_read_b64 v[119:120], v80 offset:13104
	s_movk_i32 s8, 0x3a8
	s_waitcnt vmcnt(0) lgkmcnt(0)
	s_barrier
	v_mul_f64 v[117:118], v[88:89], v[33:34]
	v_mul_f64 v[115:116], v[73:74], v[37:38]
	;; [unrolled: 1-line block ×6, first 2 shown]
	v_fma_f64 v[10:11], v[10:11], v[31:32], v[117:118]
	v_fma_f64 v[8:9], v[8:9], v[35:36], v[115:116]
	v_fma_f64 v[35:36], v[73:74], v[35:36], -v[37:38]
	v_mul_f64 v[37:38], v[90:91], v[41:42]
	v_mul_f64 v[41:42], v[12:13], v[41:42]
	v_fma_f64 v[31:32], v[88:89], v[31:32], -v[33:34]
	v_fma_f64 v[14:15], v[14:15], v[43:44], v[121:122]
	v_mul_f64 v[33:34], v[94:95], v[53:54]
	v_fma_f64 v[43:44], v[92:93], v[43:44], -v[45:46]
	v_mul_f64 v[45:46], v[16:17], v[53:54]
	v_fma_f64 v[12:13], v[12:13], v[39:40], v[37:38]
	v_mul_f64 v[37:38], v[100:101], v[49:50]
	v_fma_f64 v[39:40], v[90:91], v[39:40], -v[41:42]
	v_mul_f64 v[41:42], v[22:23], v[49:50]
	;; [unrolled: 4-line block ×3, first 2 shown]
	v_mul_f64 v[33:34], v[26:27], v[61:62]
	v_fma_f64 v[22:23], v[22:23], v[47:48], v[37:38]
	v_mul_f64 v[37:38], v[24:25], v[57:58]
	v_fma_f64 v[41:42], v[100:101], v[47:48], -v[41:42]
	v_mul_f64 v[47:48], v[110:111], v[65:66]
	v_fma_f64 v[26:27], v[26:27], v[59:60], v[49:50]
	v_mul_f64 v[49:50], v[28:29], v[65:66]
	v_fma_f64 v[24:25], v[24:25], v[55:56], v[51:52]
	v_add_f64 v[51:52], v[8:9], v[10:11]
	v_fma_f64 v[33:34], v[108:109], v[59:60], -v[33:34]
	v_add_f64 v[57:58], v[35:36], v[31:32]
	v_add_f64 v[59:60], v[14:15], v[12:13]
	v_fma_f64 v[28:29], v[28:29], v[63:64], v[47:48]
	v_add_f64 v[47:48], v[2:3], v[8:9]
	v_add_f64 v[8:9], v[8:9], -v[10:11]
	v_fma_f64 v[37:38], v[102:103], v[55:56], -v[37:38]
	v_fma_f64 v[2:3], v[51:52], -0.5, v[2:3]
	v_add_f64 v[51:52], v[35:36], -v[31:32]
	v_add_f64 v[35:36], v[75:76], v[35:36]
	v_fma_f64 v[57:58], v[57:58], -0.5, v[75:76]
	v_mul_f64 v[53:54], v[119:120], v[69:70]
	v_add_f64 v[47:48], v[47:48], v[10:11]
	v_mul_f64 v[55:56], v[112:113], v[69:70]
	v_add_f64 v[65:66], v[26:27], v[24:25]
	v_fma_f64 v[49:50], v[110:111], v[63:64], -v[49:50]
	v_fma_f64 v[10:11], v[51:52], s[4:5], v[2:3]
	v_fma_f64 v[2:3], v[51:52], s[6:7], v[2:3]
	v_add_f64 v[51:52], v[4:5], v[14:15]
	v_add_f64 v[35:36], v[35:36], v[31:32]
	;; [unrolled: 1-line block ×3, first 2 shown]
	v_fma_f64 v[4:5], v[59:60], -0.5, v[4:5]
	v_add_f64 v[59:60], v[43:44], -v[39:40]
	v_add_f64 v[43:44], v[77:78], v[43:44]
	v_fma_f64 v[61:62], v[8:9], s[6:7], v[57:58]
	v_fma_f64 v[57:58], v[8:9], s[4:5], v[57:58]
	v_add_f64 v[8:9], v[51:52], v[12:13]
	v_add_f64 v[51:52], v[16:17], v[22:23]
	v_fma_f64 v[31:32], v[31:32], -0.5, v[77:78]
	v_add_f64 v[12:13], v[14:15], -v[12:13]
	v_fma_f64 v[14:15], v[59:60], s[4:5], v[4:5]
	v_add_f64 v[39:40], v[43:44], v[39:40]
	v_add_f64 v[43:44], v[45:46], v[41:42]
	v_fma_f64 v[4:5], v[59:60], s[6:7], v[4:5]
	v_add_f64 v[59:60], v[18:19], v[16:17]
	v_fma_f64 v[53:54], v[112:113], v[67:68], v[53:54]
	v_fma_f64 v[55:56], v[119:120], v[67:68], -v[55:56]
	v_fma_f64 v[18:19], v[51:52], -0.5, v[18:19]
	v_add_f64 v[51:52], v[45:46], -v[41:42]
	v_fma_f64 v[63:64], v[12:13], s[6:7], v[31:32]
	v_fma_f64 v[67:68], v[12:13], s[4:5], v[31:32]
	v_add_f64 v[12:13], v[96:97], v[45:46]
	v_fma_f64 v[31:32], v[43:44], -0.5, v[96:97]
	v_add_f64 v[16:17], v[16:17], -v[22:23]
	v_add_f64 v[22:23], v[59:60], v[22:23]
	v_add_f64 v[45:46], v[20:21], v[26:27]
	v_fma_f64 v[20:21], v[65:66], -0.5, v[20:21]
	v_add_f64 v[59:60], v[33:34], -v[37:38]
	v_fma_f64 v[43:44], v[51:52], s[4:5], v[18:19]
	v_fma_f64 v[18:19], v[51:52], s[6:7], v[18:19]
	v_add_f64 v[41:42], v[12:13], v[41:42]
	v_fma_f64 v[51:52], v[16:17], s[6:7], v[31:32]
	v_add_f64 v[12:13], v[33:34], v[37:38]
	;; [unrolled: 2-line block ×3, first 2 shown]
	v_add_f64 v[16:17], v[45:46], v[24:25]
	v_fma_f64 v[45:46], v[59:60], s[4:5], v[20:21]
	v_fma_f64 v[20:21], v[59:60], s[6:7], v[20:21]
	v_add_f64 v[59:60], v[49:50], v[55:56]
	v_add_f64 v[24:25], v[26:27], -v[24:25]
	v_fma_f64 v[12:13], v[12:13], -0.5, v[98:99]
	v_add_f64 v[26:27], v[6:7], v[28:29]
	v_fma_f64 v[6:7], v[31:32], -0.5, v[6:7]
	v_add_f64 v[31:32], v[49:50], -v[55:56]
	v_add_f64 v[33:34], v[98:99], v[33:34]
	v_add_f64 v[49:50], v[71:72], v[49:50]
	v_fma_f64 v[59:60], v[59:60], -0.5, v[71:72]
	v_add_f64 v[28:29], v[28:29], -v[53:54]
	v_fma_f64 v[69:70], v[24:25], s[6:7], v[12:13]
	v_fma_f64 v[71:72], v[24:25], s[4:5], v[12:13]
	v_add_f64 v[12:13], v[26:27], v[53:54]
	v_fma_f64 v[24:25], v[31:32], s[4:5], v[6:7]
	v_fma_f64 v[6:7], v[31:32], s[6:7], v[6:7]
	v_mul_u32_u24_sdwa v31, v123, s8 dst_sel:DWORD dst_unused:UNUSED_PAD src0_sel:WORD_0 src1_sel:DWORD
	v_lshlrev_b32_sdwa v32, v79, v124 dst_sel:DWORD dst_unused:UNUSED_PAD src0_sel:DWORD src1_sel:BYTE_0
	v_add3_u32 v53, 0, v31, v32
	ds_write2_b64 v53, v[47:48], v[10:11] offset1:39
	ds_write_b64 v53, v[2:3] offset:624
	v_mul_u32_u24_sdwa v2, v125, s8 dst_sel:DWORD dst_unused:UNUSED_PAD src0_sel:WORD_0 src1_sel:DWORD
	v_lshlrev_b32_sdwa v3, v79, v126 dst_sel:DWORD dst_unused:UNUSED_PAD src0_sel:DWORD src1_sel:BYTE_0
	v_add3_u32 v47, 0, v2, v3
	v_mul_u32_u24_e32 v2, 0x3a8, v127
	v_lshlrev_b32_e32 v3, 3, v128
	v_add3_u32 v48, 0, v2, v3
	v_mul_u32_u24_e32 v2, 0x3a8, v129
	v_lshlrev_b32_e32 v3, 3, v130
	v_add_f64 v[37:38], v[33:34], v[37:38]
	ds_write2_b64 v47, v[8:9], v[14:15] offset1:39
	ds_write_b64 v47, v[4:5] offset:624
	ds_write2_b64 v48, v[22:23], v[43:44] offset1:39
	ds_write_b64 v48, v[18:19] offset:624
	v_add3_u32 v43, 0, v2, v3
	v_mul_u32_u24_e32 v2, 0x3a8, v131
	v_lshlrev_b32_e32 v3, 3, v132
	v_add_f64 v[26:27], v[49:50], v[55:56]
	v_fma_f64 v[49:50], v[28:29], s[6:7], v[59:60]
	v_fma_f64 v[28:29], v[28:29], s[4:5], v[59:60]
	v_add3_u32 v44, 0, v2, v3
	ds_write2_b64 v43, v[16:17], v[45:46] offset1:39
	ds_write_b64 v43, v[20:21] offset:624
	ds_write2_b64 v44, v[12:13], v[24:25] offset1:39
	ds_write_b64 v44, v[6:7] offset:624
	s_waitcnt lgkmcnt(0)
	s_barrier
	ds_read2_b64 v[2:5], v80 offset1:117
	ds_read2_b64 v[6:9], v82 offset0:84 offset1:201
	ds_read2_b64 v[10:13], v84 offset0:18 offset1:135
	;; [unrolled: 1-line block ×6, first 2 shown]
	ds_read_b64 v[108:109], v80 offset:13104
	s_waitcnt lgkmcnt(0)
	s_barrier
	ds_write2_b64 v53, v[35:36], v[61:62] offset1:39
	ds_write_b64 v53, v[57:58] offset:624
	ds_write2_b64 v47, v[39:40], v[63:64] offset1:39
	ds_write_b64 v47, v[67:68] offset:624
	;; [unrolled: 2-line block ×5, first 2 shown]
	v_lshlrev_b32_e32 v28, 1, v114
	v_mov_b32_e32 v29, 0
	v_lshlrev_b64 v[26:27], 4, v[28:29]
	v_mov_b32_e32 v28, s13
	v_add_co_u32_e32 v26, vcc, s12, v26
	v_addc_co_u32_e32 v27, vcc, v28, v27, vcc
	s_waitcnt lgkmcnt(0)
	s_barrier
	global_load_dwordx4 v[35:38], v[26:27], off offset:1664
	global_load_dwordx4 v[39:42], v[26:27], off offset:1680
	s_mov_b32 s8, 0x8c09
	v_mul_u32_u24_sdwa v26, v30, s8 dst_sel:DWORD dst_unused:UNUSED_PAD src0_sel:WORD_0 src1_sel:DWORD
	v_lshrrev_b32_e32 v26, 22, v26
	v_mul_lo_u16_e32 v26, 0x75, v26
	v_sub_u16_e32 v28, v30, v26
	v_lshlrev_b32_e32 v26, 5, v28
	global_load_dwordx4 v[43:46], v26, s[12:13] offset:1664
	global_load_dwordx4 v[47:50], v26, s[12:13] offset:1680
	v_mul_u32_u24_sdwa v26, v1, s8 dst_sel:DWORD dst_unused:UNUSED_PAD src0_sel:WORD_0 src1_sel:DWORD
	v_lshrrev_b32_e32 v26, 22, v26
	v_mul_lo_u16_e32 v26, 0x75, v26
	v_sub_u16_e32 v79, v1, v26
	v_lshlrev_b32_e32 v1, 5, v79
	global_load_dwordx4 v[51:54], v1, s[12:13] offset:1664
	global_load_dwordx4 v[55:58], v1, s[12:13] offset:1680
	;; [unrolled: 7-line block ×3, first 2 shown]
	ds_read2_b64 v[67:70], v82 offset0:84 offset1:201
	ds_read2_b64 v[71:74], v80 offset1:117
	ds_read2_b64 v[75:78], v84 offset0:18 offset1:135
	ds_read2_b64 v[88:91], v85 offset0:62 offset1:179
	;; [unrolled: 1-line block ×5, first 2 shown]
	ds_read_b64 v[112:113], v80 offset:13104
	v_lshl_add_u32 v28, v28, 3, 0
	s_waitcnt vmcnt(0) lgkmcnt(0)
	s_barrier
	v_mul_f64 v[0:1], v[69:70], v[37:38]
	v_mul_f64 v[26:27], v[8:9], v[37:38]
	;; [unrolled: 1-line block ×5, first 2 shown]
	v_fma_f64 v[0:1], v[8:9], v[35:36], v[0:1]
	v_mul_f64 v[8:9], v[14:15], v[37:38]
	v_fma_f64 v[26:27], v[69:70], v[35:36], -v[26:27]
	v_mul_f64 v[37:38], v[77:78], v[41:42]
	v_fma_f64 v[69:70], v[75:76], v[39:40], -v[115:116]
	v_fma_f64 v[14:15], v[14:15], v[35:36], v[117:118]
	v_mul_f64 v[75:76], v[90:91], v[45:46]
	v_fma_f64 v[10:11], v[10:11], v[39:40], v[110:111]
	v_mul_f64 v[41:42], v[12:13], v[41:42]
	v_fma_f64 v[8:9], v[88:89], v[35:36], -v[8:9]
	v_mul_f64 v[35:36], v[16:17], v[45:46]
	v_fma_f64 v[12:13], v[12:13], v[39:40], v[37:38]
	v_mul_f64 v[37:38], v[96:97], v[49:50]
	v_mul_f64 v[45:46], v[100:101], v[53:54]
	v_fma_f64 v[16:17], v[16:17], v[43:44], v[75:76]
	v_fma_f64 v[39:40], v[77:78], v[39:40], -v[41:42]
	v_mul_f64 v[41:42], v[22:23], v[49:50]
	v_fma_f64 v[35:36], v[90:91], v[43:44], -v[35:36]
	v_mul_f64 v[43:44], v[98:99], v[57:58]
	v_mul_f64 v[49:50], v[31:32], v[53:54]
	v_fma_f64 v[22:23], v[22:23], v[47:48], v[37:38]
	v_mul_f64 v[37:38], v[24:25], v[57:58]
	v_fma_f64 v[31:32], v[31:32], v[51:52], v[45:46]
	v_mul_f64 v[45:46], v[102:103], v[61:62]
	v_fma_f64 v[41:42], v[96:97], v[47:48], -v[41:42]
	v_add_f64 v[57:58], v[14:15], v[12:13]
	v_fma_f64 v[24:25], v[24:25], v[55:56], v[43:44]
	v_add_f64 v[43:44], v[0:1], v[10:11]
	v_fma_f64 v[47:48], v[100:101], v[51:52], -v[49:50]
	v_mul_f64 v[49:50], v[33:34], v[61:62]
	v_fma_f64 v[37:38], v[98:99], v[55:56], -v[37:38]
	v_fma_f64 v[33:34], v[33:34], v[59:60], v[45:46]
	v_add_f64 v[45:46], v[2:3], v[0:1]
	v_add_f64 v[55:56], v[26:27], v[69:70]
	v_add_f64 v[0:1], v[0:1], -v[10:11]
	v_fma_f64 v[2:3], v[43:44], -0.5, v[2:3]
	v_add_f64 v[43:44], v[26:27], -v[69:70]
	v_add_f64 v[26:27], v[71:72], v[26:27]
	v_fma_f64 v[49:50], v[102:103], v[59:60], -v[49:50]
	v_mul_f64 v[51:52], v[112:113], v[65:66]
	v_add_f64 v[45:46], v[45:46], v[10:11]
	v_fma_f64 v[55:56], v[55:56], -0.5, v[71:72]
	v_mul_f64 v[53:54], v[108:109], v[65:66]
	v_add_f64 v[65:66], v[31:32], v[24:25]
	v_fma_f64 v[10:11], v[43:44], s[4:5], v[2:3]
	v_fma_f64 v[2:3], v[43:44], s[6:7], v[2:3]
	v_add_f64 v[43:44], v[4:5], v[14:15]
	v_add_f64 v[59:60], v[26:27], v[69:70]
	;; [unrolled: 1-line block ×3, first 2 shown]
	v_fma_f64 v[4:5], v[57:58], -0.5, v[4:5]
	v_add_f64 v[57:58], v[8:9], -v[39:40]
	v_add_f64 v[8:9], v[73:74], v[8:9]
	v_fma_f64 v[61:62], v[0:1], s[6:7], v[55:56]
	v_fma_f64 v[55:56], v[0:1], s[4:5], v[55:56]
	v_add_f64 v[0:1], v[43:44], v[12:13]
	v_add_f64 v[43:44], v[16:17], v[22:23]
	v_fma_f64 v[26:27], v[26:27], -0.5, v[73:74]
	v_add_f64 v[12:13], v[14:15], -v[12:13]
	v_fma_f64 v[14:15], v[57:58], s[4:5], v[4:5]
	v_add_f64 v[39:40], v[8:9], v[39:40]
	v_add_f64 v[8:9], v[35:36], v[41:42]
	v_fma_f64 v[4:5], v[57:58], s[6:7], v[4:5]
	v_add_f64 v[57:58], v[18:19], v[16:17]
	v_fma_f64 v[51:52], v[108:109], v[63:64], v[51:52]
	v_fma_f64 v[53:54], v[112:113], v[63:64], -v[53:54]
	v_fma_f64 v[18:19], v[43:44], -0.5, v[18:19]
	v_add_f64 v[43:44], v[35:36], -v[41:42]
	v_fma_f64 v[63:64], v[12:13], s[6:7], v[26:27]
	v_fma_f64 v[69:70], v[12:13], s[4:5], v[26:27]
	v_add_f64 v[12:13], v[92:93], v[35:36]
	v_fma_f64 v[8:9], v[8:9], -0.5, v[92:93]
	v_add_f64 v[16:17], v[16:17], -v[22:23]
	v_add_f64 v[22:23], v[57:58], v[22:23]
	v_add_f64 v[35:36], v[20:21], v[31:32]
	v_fma_f64 v[20:21], v[65:66], -0.5, v[20:21]
	v_add_f64 v[57:58], v[47:48], -v[37:38]
	v_fma_f64 v[26:27], v[43:44], s[4:5], v[18:19]
	v_fma_f64 v[18:19], v[43:44], s[6:7], v[18:19]
	v_add_f64 v[41:42], v[12:13], v[41:42]
	v_fma_f64 v[43:44], v[16:17], s[6:7], v[8:9]
	v_add_f64 v[12:13], v[47:48], v[37:38]
	;; [unrolled: 2-line block ×3, first 2 shown]
	v_add_f64 v[8:9], v[35:36], v[24:25]
	v_fma_f64 v[35:36], v[57:58], s[4:5], v[20:21]
	v_fma_f64 v[20:21], v[57:58], s[6:7], v[20:21]
	v_add_f64 v[57:58], v[49:50], v[53:54]
	v_add_f64 v[47:48], v[94:95], v[47:48]
	v_fma_f64 v[12:13], v[12:13], -0.5, v[94:95]
	v_add_f64 v[24:25], v[31:32], -v[24:25]
	v_add_f64 v[31:32], v[6:7], v[33:34]
	v_fma_f64 v[6:7], v[16:17], -0.5, v[6:7]
	v_add_f64 v[16:17], v[49:50], -v[53:54]
	;; [unrolled: 3-line block ×3, first 2 shown]
	v_add_f64 v[37:38], v[47:48], v[37:38]
	v_fma_f64 v[47:48], v[24:25], s[6:7], v[12:13]
	v_fma_f64 v[67:68], v[24:25], s[4:5], v[12:13]
	v_add_f64 v[12:13], v[31:32], v[51:52]
	v_fma_f64 v[24:25], v[16:17], s[4:5], v[6:7]
	v_fma_f64 v[6:7], v[16:17], s[6:7], v[6:7]
	;; [unrolled: 3-line block ×3, first 2 shown]
	v_lshl_add_u32 v34, v79, 3, 0
	ds_write2_b64 v80, v[45:46], v[10:11] offset1:117
	ds_write2_b64 v83, v[2:3], v[0:1] offset0:106 offset1:223
	ds_write2_b64 v82, v[14:15], v[4:5] offset0:84 offset1:201
	v_add_u32_e32 v31, 0x1400, v28
	v_add_u32_e32 v45, 0x2000, v34
	ds_write2_b64 v31, v[22:23], v[26:27] offset0:62 offset1:179
	ds_write_b64 v28, v[18:19] offset:7488
	ds_write2_b64 v45, v[8:9], v[35:36] offset0:29 offset1:146
	ds_write_b64 v34, v[20:21] offset:10296
	v_lshl_add_u32 v35, v119, 3, 0
	v_add_u32_e32 v36, 0x2800, v35
	ds_write2_b64 v36, v[12:13], v[24:25] offset0:124 offset1:241
	ds_write_b64 v35, v[6:7] offset:13104
	s_waitcnt lgkmcnt(0)
	s_barrier
	ds_read2_b64 v[0:3], v80 offset1:117
	ds_read2_b64 v[4:7], v83 offset0:106 offset1:223
	ds_read2_b64 v[12:15], v85 offset0:62 offset1:179
	;; [unrolled: 1-line block ×6, first 2 shown]
	ds_read_b64 v[32:33], v80 offset:13104
	s_waitcnt lgkmcnt(0)
	s_barrier
	ds_write2_b64 v80, v[59:60], v[61:62] offset1:117
	ds_write2_b64 v83, v[55:56], v[39:40] offset0:106 offset1:223
	ds_write2_b64 v82, v[63:64], v[69:70] offset0:84 offset1:201
	ds_write2_b64 v31, v[41:42], v[43:44] offset0:62 offset1:179
	ds_write_b64 v28, v[65:66] offset:7488
	ds_write2_b64 v45, v[37:38], v[47:48] offset0:29 offset1:146
	ds_write_b64 v34, v[67:68] offset:10296
	ds_write2_b64 v36, v[49:50], v[51:52] offset0:124 offset1:241
	ds_write_b64 v35, v[53:54] offset:13104
	s_waitcnt lgkmcnt(0)
	s_barrier
	s_and_saveexec_b64 s[4:5], s[0:1]
	s_cbranch_execz .LBB0_21
; %bb.20:
	v_lshlrev_b32_e32 v28, 2, v30
	v_lshlrev_b64 v[30:31], 4, v[28:29]
	v_mov_b32_e32 v70, s13
	v_add_co_u32_e32 v28, vcc, s12, v30
	v_addc_co_u32_e32 v42, vcc, v70, v31, vcc
	s_movk_i32 s15, 0x1520
	v_add_co_u32_e32 v30, vcc, s15, v28
	v_addc_co_u32_e32 v31, vcc, 0, v42, vcc
	s_movk_i32 s13, 0x1000
	v_add_co_u32_e32 v50, vcc, s13, v28
	global_load_dwordx4 v[34:37], v[30:31], off offset:32
	global_load_dwordx4 v[38:41], v[30:31], off offset:16
	v_addc_co_u32_e32 v51, vcc, 0, v42, vcc
	global_load_dwordx4 v[42:45], v[50:51], off offset:1312
	global_load_dwordx4 v[46:49], v[30:31], off offset:48
	v_add_u32_e32 v28, 0x1c00, v80
	v_add_u32_e32 v54, 0xc00, v80
	;; [unrolled: 1-line block ×4, first 2 shown]
	ds_read_b64 v[78:79], v80 offset:13104
	ds_read2_b64 v[50:53], v28 offset0:40 offset1:157
	ds_read2_b64 v[54:57], v54 offset0:84 offset1:201
	;; [unrolled: 1-line block ×4, first 2 shown]
	v_lshlrev_b32_e32 v28, 2, v81
	v_lshlrev_b64 v[66:67], 4, v[28:29]
	v_lshlrev_b32_e32 v28, 2, v114
	v_lshlrev_b64 v[68:69], 4, v[28:29]
	v_add_co_u32_e32 v28, vcc, s12, v66
	v_addc_co_u32_e32 v66, vcc, v70, v67, vcc
	v_add_co_u32_e32 v85, vcc, s15, v28
	v_mul_lo_u32 v71, s3, v106
	v_mul_lo_u32 v72, s2, v107
	v_mad_u64_u32 v[30:31], s[0:1], s2, v106, 0
	v_addc_co_u32_e32 v86, vcc, 0, v66, vcc
	v_add_co_u32_e32 v87, vcc, s13, v28
	v_addc_co_u32_e32 v88, vcc, 0, v66, vcc
	v_add_co_u32_e32 v28, vcc, s12, v68
	v_add3_u32 v31, v31, v72, v71
	v_addc_co_u32_e32 v103, vcc, v70, v69, vcc
	global_load_dwordx4 v[66:69], v[87:88], off offset:1312
	global_load_dwordx4 v[70:73], v[85:86], off offset:48
	;; [unrolled: 1-line block ×4, first 2 shown]
	s_mov_b32 s2, 0x134454ff
	s_mov_b32 s3, 0x3fee6f0e
	;; [unrolled: 1-line block ×10, first 2 shown]
	s_waitcnt vmcnt(7)
	v_mul_f64 v[87:88], v[26:27], v[36:37]
	s_waitcnt vmcnt(6)
	v_mul_f64 v[85:86], v[16:17], v[40:41]
	s_waitcnt lgkmcnt(3)
	v_mul_f64 v[40:41], v[50:51], v[40:41]
	s_waitcnt lgkmcnt(1)
	v_mul_f64 v[36:37], v[60:61], v[36:37]
	s_waitcnt vmcnt(5)
	v_mul_f64 v[89:90], v[22:23], v[44:45]
	s_waitcnt vmcnt(4)
	v_mul_f64 v[91:92], v[32:33], v[48:49]
	v_mul_f64 v[44:45], v[56:57], v[44:45]
	;; [unrolled: 1-line block ×3, first 2 shown]
	v_fma_f64 v[60:61], v[60:61], v[34:35], -v[87:88]
	v_fma_f64 v[50:51], v[50:51], v[38:39], -v[85:86]
	v_fma_f64 v[97:98], v[16:17], v[38:39], v[40:41]
	v_add_co_u32_e32 v16, vcc, s13, v28
	v_addc_co_u32_e32 v17, vcc, 0, v103, vcc
	v_fma_f64 v[99:100], v[26:27], v[34:35], v[36:37]
	global_load_dwordx4 v[34:37], v[16:17], off offset:1312
	v_fma_f64 v[16:17], v[56:57], v[42:43], -v[89:90]
	v_fma_f64 v[26:27], v[78:79], v[46:47], -v[91:92]
	v_fma_f64 v[56:57], v[22:23], v[42:43], v[44:45]
	v_fma_f64 v[32:33], v[32:33], v[46:47], v[48:49]
	v_add_f64 v[38:39], v[50:51], v[60:61]
	v_add_f64 v[78:79], v[50:51], -v[60:61]
	v_add_f64 v[40:41], v[97:98], v[99:100]
	v_add_f64 v[22:23], v[97:98], -v[99:100]
	s_waitcnt lgkmcnt(0)
	v_add_f64 v[89:90], v[16:17], v[62:63]
	v_add_f64 v[46:47], v[16:17], v[26:27]
	v_add_f64 v[42:43], v[50:51], -v[16:17]
	v_add_f64 v[48:49], v[56:57], -v[32:33]
	v_fma_f64 v[38:39], v[38:39], -0.5, v[62:63]
	v_add_f64 v[85:86], v[16:17], -v[50:51]
	v_add_f64 v[101:102], v[16:17], -v[26:27]
	v_add_f64 v[16:17], v[56:57], v[32:33]
	v_add_f64 v[44:45], v[60:61], -v[26:27]
	v_fma_f64 v[46:47], v[46:47], -0.5, v[62:63]
	v_add_f64 v[87:88], v[26:27], -v[60:61]
	v_fma_f64 v[108:109], v[40:41], -0.5, v[4:5]
	v_add_f64 v[40:41], v[50:51], v[89:90]
	v_fma_f64 v[50:51], v[48:49], s[8:9], v[38:39]
	v_fma_f64 v[38:39], v[48:49], s[2:3], v[38:39]
	v_fma_f64 v[16:17], v[16:17], -0.5, v[4:5]
	v_add_f64 v[42:43], v[42:43], v[44:45]
	v_fma_f64 v[62:63], v[22:23], s[2:3], v[46:47]
	v_fma_f64 v[46:47], v[22:23], s[8:9], v[46:47]
	v_add_f64 v[44:45], v[85:86], v[87:88]
	v_add_f64 v[40:41], v[60:61], v[40:41]
	v_add_f64 v[91:92], v[97:98], -v[56:57]
	v_fma_f64 v[38:39], v[22:23], s[6:7], v[38:39]
	v_add_f64 v[93:94], v[99:100], -v[32:33]
	v_fma_f64 v[60:61], v[78:79], s[8:9], v[16:17]
	v_fma_f64 v[85:86], v[78:79], s[2:3], v[16:17]
	;; [unrolled: 1-line block ×5, first 2 shown]
	v_add_f64 v[16:17], v[26:27], v[40:41]
	v_fma_f64 v[26:27], v[44:45], s[0:1], v[38:39]
	v_add_co_u32_e32 v38, vcc, s15, v28
	v_addc_co_u32_e32 v39, vcc, 0, v103, vcc
	v_add_f64 v[89:90], v[91:92], v[93:94]
	v_fma_f64 v[93:94], v[101:102], s[6:7], v[60:61]
	v_fma_f64 v[110:111], v[101:102], s[4:5], v[85:86]
	;; [unrolled: 1-line block ×5, first 2 shown]
	global_load_dwordx4 v[46:49], v[38:39], off offset:48
	global_load_dwordx4 v[60:63], v[38:39], off offset:32
	;; [unrolled: 1-line block ×3, first 2 shown]
	v_add_f64 v[95:96], v[56:57], -v[97:98]
	v_add_f64 v[106:107], v[32:33], -v[99:100]
	v_fma_f64 v[91:92], v[101:102], s[2:3], v[108:109]
	v_add_f64 v[4:5], v[4:5], v[56:57]
	s_waitcnt vmcnt(7)
	v_mul_f64 v[56:57], v[20:21], v[68:69]
	s_waitcnt vmcnt(6)
	v_mul_f64 v[112:113], v[10:11], v[72:73]
	v_add_u32_e32 v28, 0x1400, v80
	v_fma_f64 v[38:39], v[89:90], s[0:1], v[93:94]
	v_fma_f64 v[42:43], v[89:90], s[0:1], v[110:111]
	v_add_f64 v[50:51], v[95:96], v[106:107]
	v_fma_f64 v[106:107], v[78:79], s[6:7], v[91:92]
	ds_read2_b64 v[89:92], v28 offset0:62 offset1:179
	v_add_u32_e32 v28, 0x2800, v80
	ds_read2_b64 v[93:96], v28 offset0:124 offset1:241
	s_waitcnt vmcnt(4)
	v_mul_f64 v[110:111], v[14:15], v[83:84]
	v_mul_f64 v[115:116], v[24:25], v[76:77]
	v_fma_f64 v[101:102], v[101:102], s[8:9], v[108:109]
	v_fma_f64 v[108:109], v[54:55], v[66:67], -v[56:57]
	s_waitcnt lgkmcnt(1)
	v_mul_f64 v[56:57], v[91:92], v[83:84]
	v_mul_f64 v[76:77], v[58:59], v[76:77]
	s_waitcnt lgkmcnt(0)
	v_fma_f64 v[83:84], v[95:96], v[70:71], -v[112:113]
	v_add_f64 v[4:5], v[97:98], v[4:5]
	v_fma_f64 v[91:92], v[91:92], v[81:82], -v[110:111]
	v_fma_f64 v[97:98], v[58:59], v[74:75], -v[115:116]
	v_mul_f64 v[58:59], v[54:55], v[68:69]
	v_mul_f64 v[68:69], v[95:96], v[72:73]
	v_fma_f64 v[72:73], v[14:15], v[81:82], v[56:57]
	v_fma_f64 v[74:75], v[24:25], v[74:75], v[76:77]
	v_add_f64 v[14:15], v[108:109], v[83:84]
	ds_read2_b64 v[54:57], v80 offset1:117
	v_fma_f64 v[24:25], v[78:79], s[4:5], v[101:102]
	v_add_f64 v[4:5], v[4:5], v[99:100]
	v_fma_f64 v[76:77], v[20:21], v[66:67], v[58:59]
	v_fma_f64 v[68:69], v[10:11], v[70:71], v[68:69]
	v_add_f64 v[10:11], v[91:92], v[97:98]
	v_add_f64 v[66:67], v[72:73], -v[74:75]
	s_waitcnt lgkmcnt(0)
	v_fma_f64 v[58:59], v[14:15], -0.5, v[56:57]
	v_fma_f64 v[20:21], v[50:51], s[0:1], v[106:107]
	v_fma_f64 v[24:25], v[50:51], s[0:1], v[24:25]
	v_add_f64 v[50:51], v[91:92], -v[108:109]
	v_add_f64 v[70:71], v[97:98], -v[83:84]
	;; [unrolled: 1-line block ×3, first 2 shown]
	v_fma_f64 v[10:11], v[10:11], -0.5, v[56:57]
	v_add_f64 v[14:15], v[4:5], v[32:33]
	v_fma_f64 v[4:5], v[66:67], s[2:3], v[58:59]
	v_fma_f64 v[32:33], v[66:67], s[8:9], v[58:59]
	v_add_f64 v[58:59], v[76:77], v[68:69]
	v_add_f64 v[80:81], v[108:109], -v[91:92]
	v_add_f64 v[95:96], v[83:84], -v[97:98]
	v_add_f64 v[50:51], v[50:51], v[70:71]
	v_fma_f64 v[70:71], v[78:79], s[8:9], v[10:11]
	v_add_f64 v[56:57], v[108:109], v[56:57]
	v_add_f64 v[101:102], v[91:92], -v[97:98]
	v_fma_f64 v[4:5], v[78:79], s[4:5], v[4:5]
	v_fma_f64 v[99:100], v[58:59], -0.5, v[2:3]
	v_fma_f64 v[32:33], v[78:79], s[6:7], v[32:33]
	v_add_f64 v[80:81], v[80:81], v[95:96]
	v_fma_f64 v[10:11], v[78:79], s[2:3], v[10:11]
	v_fma_f64 v[70:71], v[66:67], s[4:5], v[70:71]
	v_add_f64 v[56:57], v[91:92], v[56:57]
	v_add_f64 v[78:79], v[72:73], -v[76:77]
	v_add_f64 v[91:92], v[74:75], -v[68:69]
	;; [unrolled: 1-line block ×3, first 2 shown]
	v_fma_f64 v[106:107], v[101:102], s[8:9], v[99:100]
	v_fma_f64 v[58:59], v[50:51], s[0:1], v[4:5]
	v_fma_f64 v[66:67], v[66:67], s[6:7], v[10:11]
	v_fma_f64 v[10:11], v[80:81], s[0:1], v[70:71]
	v_add_f64 v[56:57], v[97:98], v[56:57]
	v_fma_f64 v[4:5], v[50:51], s[0:1], v[32:33]
	v_add_f64 v[70:71], v[78:79], v[91:92]
	v_fma_f64 v[91:92], v[101:102], s[2:3], v[99:100]
	v_fma_f64 v[78:79], v[95:96], s[6:7], v[106:107]
	v_add_f64 v[32:33], v[72:73], v[74:75]
	v_fma_f64 v[50:51], v[80:81], s[0:1], v[66:67]
	v_add_f64 v[80:81], v[76:77], -v[72:73]
	v_add_f64 v[66:67], v[83:84], v[56:57]
	s_waitcnt vmcnt(3)
	v_mul_f64 v[82:83], v[6:7], v[36:37]
	v_add_f64 v[97:98], v[68:69], -v[74:75]
	s_waitcnt vmcnt(1)
	v_mul_f64 v[106:107], v[18:19], v[62:63]
	v_fma_f64 v[56:57], v[70:71], s[0:1], v[78:79]
	v_fma_f64 v[78:79], v[95:96], s[4:5], v[91:92]
	v_mul_f64 v[91:92], v[8:9], v[48:49]
	v_fma_f64 v[32:33], v[32:33], -0.5, v[2:3]
	s_waitcnt vmcnt(0)
	v_mul_f64 v[99:100], v[12:13], v[87:88]
	v_fma_f64 v[82:83], v[64:65], v[34:35], -v[82:83]
	v_mul_f64 v[87:88], v[89:90], v[87:88]
	v_mul_f64 v[62:63], v[52:53], v[62:63]
	;; [unrolled: 1-line block ×4, first 2 shown]
	v_fma_f64 v[91:92], v[93:94], v[46:47], -v[91:92]
	v_add_f64 v[80:81], v[80:81], v[97:98]
	v_fma_f64 v[97:98], v[95:96], s[2:3], v[32:33]
	v_fma_f64 v[89:90], v[89:90], v[85:86], -v[99:100]
	v_fma_f64 v[52:53], v[52:53], v[60:61], -v[106:107]
	v_fma_f64 v[12:13], v[12:13], v[85:86], v[87:88]
	v_fma_f64 v[18:19], v[18:19], v[60:61], v[62:63]
	;; [unrolled: 1-line block ×3, first 2 shown]
	v_add_f64 v[60:61], v[82:83], v[91:92]
	v_fma_f64 v[6:7], v[6:7], v[34:35], v[36:37]
	v_fma_f64 v[36:37], v[8:9], v[46:47], v[48:49]
	v_add_f64 v[46:47], v[2:3], v[76:77]
	v_fma_f64 v[64:65], v[101:102], s[6:7], v[97:98]
	v_add_f64 v[34:35], v[89:90], v[52:53]
	v_fma_f64 v[2:3], v[70:71], s[0:1], v[78:79]
	v_add_f64 v[70:71], v[12:13], -v[18:19]
	v_fma_f64 v[48:49], v[60:61], -0.5, v[54:55]
	v_fma_f64 v[32:33], v[101:102], s[4:5], v[32:33]
	v_add_f64 v[60:61], v[6:7], -v[36:37]
	v_add_f64 v[46:47], v[72:73], v[46:47]
	v_fma_f64 v[8:9], v[80:81], s[0:1], v[64:65]
	v_fma_f64 v[34:35], v[34:35], -0.5, v[54:55]
	v_add_f64 v[62:63], v[89:90], -v[82:83]
	v_add_f64 v[64:65], v[52:53], -v[91:92]
	v_fma_f64 v[72:73], v[70:71], s[2:3], v[48:49]
	v_fma_f64 v[76:77], v[70:71], s[8:9], v[48:49]
	v_add_f64 v[78:79], v[82:83], -v[89:90]
	v_add_f64 v[84:85], v[91:92], -v[52:53]
	v_fma_f64 v[48:49], v[80:81], s[0:1], v[32:33]
	v_add_f64 v[32:33], v[46:47], v[74:75]
	v_fma_f64 v[86:87], v[60:61], s[8:9], v[34:35]
	v_add_f64 v[46:47], v[62:63], v[64:65]
	v_add_f64 v[54:55], v[82:83], v[54:55]
	v_fma_f64 v[62:63], v[60:61], s[4:5], v[72:73]
	v_fma_f64 v[72:73], v[60:61], s[6:7], v[76:77]
	v_add_f64 v[74:75], v[78:79], v[84:85]
	v_add_f64 v[78:79], v[6:7], v[36:37]
	;; [unrolled: 1-line block ×4, first 2 shown]
	v_fma_f64 v[76:77], v[70:71], s[4:5], v[86:87]
	v_fma_f64 v[32:33], v[60:61], s[2:3], v[34:35]
	v_add_f64 v[60:61], v[89:90], v[54:55]
	v_fma_f64 v[34:35], v[46:47], s[0:1], v[62:63]
	v_fma_f64 v[54:55], v[46:47], s[0:1], v[72:73]
	v_fma_f64 v[46:47], v[78:79], -0.5, v[0:1]
	v_add_f64 v[72:73], v[89:90], -v[52:53]
	v_fma_f64 v[68:69], v[68:69], -0.5, v[0:1]
	v_add_f64 v[0:1], v[0:1], v[6:7]
	v_fma_f64 v[62:63], v[74:75], s[0:1], v[76:77]
	v_fma_f64 v[32:33], v[70:71], s[6:7], v[32:33]
	v_add_f64 v[52:53], v[52:53], v[60:61]
	v_add_f64 v[60:61], v[82:83], -v[91:92]
	v_add_f64 v[70:71], v[12:13], -v[6:7]
	;; [unrolled: 1-line block ×3, first 2 shown]
	v_fma_f64 v[78:79], v[72:73], s[8:9], v[46:47]
	v_fma_f64 v[46:47], v[72:73], s[2:3], v[46:47]
	v_add_f64 v[0:1], v[12:13], v[0:1]
	v_add_f64 v[6:7], v[6:7], -v[12:13]
	v_add_f64 v[80:81], v[36:37], -v[18:19]
	v_fma_f64 v[82:83], v[60:61], s[2:3], v[68:69]
	v_fma_f64 v[68:69], v[60:61], s[8:9], v[68:69]
	v_add_f64 v[12:13], v[70:71], v[76:77]
	v_fma_f64 v[76:77], v[60:61], s[6:7], v[78:79]
	v_fma_f64 v[46:47], v[60:61], s[4:5], v[46:47]
	v_add_f64 v[0:1], v[0:1], v[18:19]
	s_mov_b32 s2, 0x756cac21
	v_fma_f64 v[70:71], v[74:75], s[0:1], v[32:33]
	v_add_f64 v[74:75], v[91:92], v[52:53]
	v_add_f64 v[6:7], v[6:7], v[80:81]
	v_fma_f64 v[60:61], v[72:73], s[6:7], v[82:83]
	v_fma_f64 v[32:33], v[12:13], s[0:1], v[76:77]
	;; [unrolled: 1-line block ×3, first 2 shown]
	v_mul_hi_u32 v12, v114, s2
	v_fma_f64 v[68:69], v[72:73], s[4:5], v[68:69]
	v_add_f64 v[72:73], v[0:1], v[36:37]
	v_sub_u32_e32 v0, v114, v12
	v_lshrrev_b32_e32 v0, 1, v0
	v_add_u32_e32 v0, v0, v12
	v_lshrrev_b32_e32 v0, 8, v0
	v_mul_u32_u24_e32 v0, 0x15f, v0
	v_fma_f64 v[60:61], v[6:7], s[0:1], v[60:61]
	v_fma_f64 v[68:69], v[6:7], s[0:1], v[68:69]
	v_sub_u32_e32 v6, v114, v0
	v_lshlrev_b64 v[0:1], 4, v[30:31]
	v_mov_b32_e32 v7, s11
	v_add_co_u32_e32 v12, vcc, s10, v0
	v_addc_co_u32_e32 v7, vcc, v7, v1, vcc
	v_lshlrev_b64 v[0:1], 4, v[104:105]
	s_movk_i32 s0, 0x4000
	v_add_co_u32_e32 v12, vcc, v12, v0
	v_addc_co_u32_e32 v13, vcc, v7, v1, vcc
	v_lshlrev_b32_e32 v0, 4, v6
	v_add_co_u32_e32 v0, vcc, v12, v0
	v_addc_co_u32_e32 v1, vcc, 0, v13, vcc
	v_add_co_u32_e32 v6, vcc, s13, v0
	v_addc_co_u32_e32 v7, vcc, 0, v1, vcc
	global_store_dwordx4 v[6:7], v[68:71], off offset:1520
	v_add_co_u32_e32 v6, vcc, s14, v0
	v_addc_co_u32_e32 v7, vcc, 0, v1, vcc
	global_store_dwordx4 v[6:7], v[52:55], off offset:3040
	;; [unrolled: 3-line block ×3, first 2 shown]
	v_add_u32_e32 v6, 0x75, v114
	v_mul_hi_u32 v7, v6, s2
	s_movk_i32 s0, 0x5000
	global_store_dwordx4 v[0:1], v[72:75], off
	v_add_co_u32_e32 v0, vcc, s0, v0
	v_addc_co_u32_e32 v1, vcc, 0, v1, vcc
	global_store_dwordx4 v[0:1], v[60:63], off offset:1984
	v_sub_u32_e32 v0, v6, v7
	v_lshrrev_b32_e32 v0, 1, v0
	v_add_u32_e32 v0, v0, v7
	v_lshrrev_b32_e32 v0, 8, v0
	v_mul_u32_u24_e32 v1, 0x15f, v0
	v_sub_u32_e32 v1, v6, v1
	s_movk_i32 s0, 0x6db
	v_mad_u32_u24 v28, v0, s0, v1
	v_lshlrev_b64 v[0:1], 4, v[28:29]
	v_add_co_u32_e32 v0, vcc, v12, v0
	v_addc_co_u32_e32 v1, vcc, v13, v1, vcc
	global_store_dwordx4 v[0:1], v[64:67], off
	v_add_u32_e32 v0, 0x15f, v28
	v_mov_b32_e32 v1, v29
	v_lshlrev_b64 v[0:1], 4, v[0:1]
	v_add_co_u32_e32 v0, vcc, v12, v0
	v_addc_co_u32_e32 v1, vcc, v13, v1, vcc
	global_store_dwordx4 v[0:1], v[48:51], off
	v_add_u32_e32 v0, 0x2be, v28
	v_mov_b32_e32 v1, v29
	;; [unrolled: 6-line block ×3, first 2 shown]
	v_lshlrev_b64 v[0:1], 4, v[0:1]
	v_add_u32_e32 v28, 0x57c, v28
	v_add_co_u32_e32 v0, vcc, v12, v0
	v_addc_co_u32_e32 v1, vcc, v13, v1, vcc
	v_add_u32_e32 v2, 0xea, v114
	global_store_dwordx4 v[0:1], v[56:59], off
	v_lshlrev_b64 v[0:1], 4, v[28:29]
	v_mul_hi_u32 v3, v2, s2
	v_add_co_u32_e32 v0, vcc, v12, v0
	v_addc_co_u32_e32 v1, vcc, v13, v1, vcc
	global_store_dwordx4 v[0:1], v[8:11], off
	v_sub_u32_e32 v0, v2, v3
	v_lshrrev_b32_e32 v0, 1, v0
	v_add_u32_e32 v0, v0, v3
	v_lshrrev_b32_e32 v0, 8, v0
	v_mul_u32_u24_e32 v1, 0x15f, v0
	v_sub_u32_e32 v1, v2, v1
	v_mad_u32_u24 v28, v0, s0, v1
	v_lshlrev_b64 v[0:1], 4, v[28:29]
	v_add_co_u32_e32 v0, vcc, v12, v0
	v_addc_co_u32_e32 v1, vcc, v13, v1, vcc
	global_store_dwordx4 v[0:1], v[14:17], off
	v_add_u32_e32 v0, 0x15f, v28
	v_mov_b32_e32 v1, v29
	v_lshlrev_b64 v[0:1], 4, v[0:1]
	v_add_co_u32_e32 v0, vcc, v12, v0
	v_addc_co_u32_e32 v1, vcc, v13, v1, vcc
	global_store_dwordx4 v[0:1], v[24:27], off
	v_add_u32_e32 v0, 0x2be, v28
	v_mov_b32_e32 v1, v29
	;; [unrolled: 6-line block ×3, first 2 shown]
	v_lshlrev_b64 v[0:1], 4, v[0:1]
	v_add_u32_e32 v28, 0x57c, v28
	v_add_co_u32_e32 v0, vcc, v12, v0
	v_addc_co_u32_e32 v1, vcc, v13, v1, vcc
	global_store_dwordx4 v[0:1], v[38:41], off
	v_lshlrev_b64 v[0:1], 4, v[28:29]
	v_add_co_u32_e32 v0, vcc, v12, v0
	v_addc_co_u32_e32 v1, vcc, v13, v1, vcc
	global_store_dwordx4 v[0:1], v[20:23], off
.LBB0_21:
	s_endpgm
	.section	.rodata,"a",@progbits
	.p2align	6, 0x0
	.amdhsa_kernel fft_rtc_back_len1755_factors_13_3_3_3_5_wgs_117_tpt_117_halfLds_dp_op_CI_CI_unitstride_sbrr_dirReg
		.amdhsa_group_segment_fixed_size 0
		.amdhsa_private_segment_fixed_size 0
		.amdhsa_kernarg_size 104
		.amdhsa_user_sgpr_count 6
		.amdhsa_user_sgpr_private_segment_buffer 1
		.amdhsa_user_sgpr_dispatch_ptr 0
		.amdhsa_user_sgpr_queue_ptr 0
		.amdhsa_user_sgpr_kernarg_segment_ptr 1
		.amdhsa_user_sgpr_dispatch_id 0
		.amdhsa_user_sgpr_flat_scratch_init 0
		.amdhsa_user_sgpr_private_segment_size 0
		.amdhsa_uses_dynamic_stack 0
		.amdhsa_system_sgpr_private_segment_wavefront_offset 0
		.amdhsa_system_sgpr_workgroup_id_x 1
		.amdhsa_system_sgpr_workgroup_id_y 0
		.amdhsa_system_sgpr_workgroup_id_z 0
		.amdhsa_system_sgpr_workgroup_info 0
		.amdhsa_system_vgpr_workitem_id 0
		.amdhsa_next_free_vgpr 179
		.amdhsa_next_free_sgpr 48
		.amdhsa_reserve_vcc 1
		.amdhsa_reserve_flat_scratch 0
		.amdhsa_float_round_mode_32 0
		.amdhsa_float_round_mode_16_64 0
		.amdhsa_float_denorm_mode_32 3
		.amdhsa_float_denorm_mode_16_64 3
		.amdhsa_dx10_clamp 1
		.amdhsa_ieee_mode 1
		.amdhsa_fp16_overflow 0
		.amdhsa_exception_fp_ieee_invalid_op 0
		.amdhsa_exception_fp_denorm_src 0
		.amdhsa_exception_fp_ieee_div_zero 0
		.amdhsa_exception_fp_ieee_overflow 0
		.amdhsa_exception_fp_ieee_underflow 0
		.amdhsa_exception_fp_ieee_inexact 0
		.amdhsa_exception_int_div_zero 0
	.end_amdhsa_kernel
	.text
.Lfunc_end0:
	.size	fft_rtc_back_len1755_factors_13_3_3_3_5_wgs_117_tpt_117_halfLds_dp_op_CI_CI_unitstride_sbrr_dirReg, .Lfunc_end0-fft_rtc_back_len1755_factors_13_3_3_3_5_wgs_117_tpt_117_halfLds_dp_op_CI_CI_unitstride_sbrr_dirReg
                                        ; -- End function
	.section	.AMDGPU.csdata,"",@progbits
; Kernel info:
; codeLenInByte = 16672
; NumSgprs: 52
; NumVgprs: 179
; ScratchSize: 0
; MemoryBound: 1
; FloatMode: 240
; IeeeMode: 1
; LDSByteSize: 0 bytes/workgroup (compile time only)
; SGPRBlocks: 6
; VGPRBlocks: 44
; NumSGPRsForWavesPerEU: 52
; NumVGPRsForWavesPerEU: 179
; Occupancy: 1
; WaveLimiterHint : 1
; COMPUTE_PGM_RSRC2:SCRATCH_EN: 0
; COMPUTE_PGM_RSRC2:USER_SGPR: 6
; COMPUTE_PGM_RSRC2:TRAP_HANDLER: 0
; COMPUTE_PGM_RSRC2:TGID_X_EN: 1
; COMPUTE_PGM_RSRC2:TGID_Y_EN: 0
; COMPUTE_PGM_RSRC2:TGID_Z_EN: 0
; COMPUTE_PGM_RSRC2:TIDIG_COMP_CNT: 0
	.type	__hip_cuid_48a06eb8d9524ecf,@object ; @__hip_cuid_48a06eb8d9524ecf
	.section	.bss,"aw",@nobits
	.globl	__hip_cuid_48a06eb8d9524ecf
__hip_cuid_48a06eb8d9524ecf:
	.byte	0                               ; 0x0
	.size	__hip_cuid_48a06eb8d9524ecf, 1

	.ident	"AMD clang version 19.0.0git (https://github.com/RadeonOpenCompute/llvm-project roc-6.4.0 25133 c7fe45cf4b819c5991fe208aaa96edf142730f1d)"
	.section	".note.GNU-stack","",@progbits
	.addrsig
	.addrsig_sym __hip_cuid_48a06eb8d9524ecf
	.amdgpu_metadata
---
amdhsa.kernels:
  - .args:
      - .actual_access:  read_only
        .address_space:  global
        .offset:         0
        .size:           8
        .value_kind:     global_buffer
      - .offset:         8
        .size:           8
        .value_kind:     by_value
      - .actual_access:  read_only
        .address_space:  global
        .offset:         16
        .size:           8
        .value_kind:     global_buffer
      - .actual_access:  read_only
        .address_space:  global
        .offset:         24
        .size:           8
        .value_kind:     global_buffer
      - .actual_access:  read_only
        .address_space:  global
        .offset:         32
        .size:           8
        .value_kind:     global_buffer
      - .offset:         40
        .size:           8
        .value_kind:     by_value
      - .actual_access:  read_only
        .address_space:  global
        .offset:         48
        .size:           8
        .value_kind:     global_buffer
      - .actual_access:  read_only
        .address_space:  global
        .offset:         56
        .size:           8
        .value_kind:     global_buffer
      - .offset:         64
        .size:           4
        .value_kind:     by_value
      - .actual_access:  read_only
        .address_space:  global
        .offset:         72
        .size:           8
        .value_kind:     global_buffer
      - .actual_access:  read_only
        .address_space:  global
        .offset:         80
        .size:           8
        .value_kind:     global_buffer
      - .actual_access:  read_only
        .address_space:  global
        .offset:         88
        .size:           8
        .value_kind:     global_buffer
      - .actual_access:  write_only
        .address_space:  global
        .offset:         96
        .size:           8
        .value_kind:     global_buffer
    .group_segment_fixed_size: 0
    .kernarg_segment_align: 8
    .kernarg_segment_size: 104
    .language:       OpenCL C
    .language_version:
      - 2
      - 0
    .max_flat_workgroup_size: 117
    .name:           fft_rtc_back_len1755_factors_13_3_3_3_5_wgs_117_tpt_117_halfLds_dp_op_CI_CI_unitstride_sbrr_dirReg
    .private_segment_fixed_size: 0
    .sgpr_count:     52
    .sgpr_spill_count: 0
    .symbol:         fft_rtc_back_len1755_factors_13_3_3_3_5_wgs_117_tpt_117_halfLds_dp_op_CI_CI_unitstride_sbrr_dirReg.kd
    .uniform_work_group_size: 1
    .uses_dynamic_stack: false
    .vgpr_count:     179
    .vgpr_spill_count: 0
    .wavefront_size: 64
amdhsa.target:   amdgcn-amd-amdhsa--gfx906
amdhsa.version:
  - 1
  - 2
...

	.end_amdgpu_metadata
